;; amdgpu-corpus repo=ROCm/rocFFT kind=compiled arch=gfx1030 opt=O3
	.text
	.amdgcn_target "amdgcn-amd-amdhsa--gfx1030"
	.amdhsa_code_object_version 6
	.protected	bluestein_single_fwd_len136_dim1_dp_op_CI_CI ; -- Begin function bluestein_single_fwd_len136_dim1_dp_op_CI_CI
	.globl	bluestein_single_fwd_len136_dim1_dp_op_CI_CI
	.p2align	8
	.type	bluestein_single_fwd_len136_dim1_dp_op_CI_CI,@function
bluestein_single_fwd_len136_dim1_dp_op_CI_CI: ; @bluestein_single_fwd_len136_dim1_dp_op_CI_CI
; %bb.0:
	s_mov_b64 s[58:59], s[2:3]
	s_mov_b64 s[56:57], s[0:1]
	s_load_dwordx4 s[0:3], s[4:5], 0x28
	v_mul_u32_u24_e32 v1, 0xf10, v0
	s_add_u32 s56, s56, s7
	s_addc_u32 s57, s57, 0
	v_lshrrev_b32_e32 v1, 16, v1
	v_mad_u64_u32 v[104:105], null, s6, 7, v[1:2]
	v_mov_b32_e32 v105, 0
	s_waitcnt lgkmcnt(0)
	v_cmp_gt_u64_e32 vcc_lo, s[0:1], v[104:105]
	s_and_saveexec_b32 s0, vcc_lo
	s_cbranch_execz .LBB0_15
; %bb.1:
	v_mul_hi_u32 v2, 0x24924925, v104
	v_mul_lo_u16 v1, v1, 17
	s_clause 0x1
	s_load_dwordx2 s[6:7], s[4:5], 0x0
	s_load_dwordx2 s[12:13], s[4:5], 0x38
	v_sub_nc_u16 v0, v0, v1
	v_sub_nc_u32_e32 v3, v104, v2
	v_and_b32_e32 v255, 0xffff, v0
	v_cmp_gt_u16_e32 vcc_lo, 8, v0
	v_lshrrev_b32_e32 v3, 1, v3
	v_lshlrev_b32_e32 v141, 4, v255
	v_add_nc_u32_e32 v2, v3, v2
	v_lshrrev_b32_e32 v2, 2, v2
	v_mul_lo_u32 v1, v2, 7
	v_sub_nc_u32_e32 v0, v104, v1
	v_mul_u32_u24_e32 v142, 0x88, v0
	v_or_b32_e32 v0, v142, v255
	v_lshlrev_b32_e32 v0, 4, v0
	buffer_store_dword v0, off, s[56:59], 0 ; 4-byte Folded Spill
	s_and_saveexec_b32 s1, vcc_lo
	s_cbranch_execz .LBB0_3
; %bb.2:
	s_load_dwordx2 s[8:9], s[4:5], 0x18
	v_or_b32_e32 v41, 8, v255
	v_or_b32_e32 v35, 48, v255
	v_or_b32_e32 v42, 16, v255
	v_or_b32_e32 v43, 24, v255
	v_or_b32_e32 v44, 32, v255
	v_or_b32_e32 v45, 40, v255
	v_or_b32_e32 v49, 56, v255
	v_or_b32_e32 v53, 64, v255
	v_or_b32_e32 v55, 0x48, v255
	v_or_b32_e32 v96, 0x50, v255
	v_or_b32_e32 v124, 0x80, v255
	v_or_b32_e32 v121, 0x58, v255
	v_or_b32_e32 v122, 0x60, v255
	v_or_b32_e32 v123, 0x68, v255
	v_or_b32_e32 v125, 0x70, v255
	v_or_b32_e32 v126, 0x78, v255
	v_lshlrev_b32_e32 v133, 4, v124
	s_waitcnt lgkmcnt(0)
	s_load_dwordx4 s[8:11], s[8:9], 0x0
	s_clause 0x4
	global_load_dwordx4 v[0:3], v141, s[6:7]
	global_load_dwordx4 v[4:7], v141, s[6:7] offset:128
	global_load_dwordx4 v[8:11], v141, s[6:7] offset:256
	global_load_dwordx4 v[12:15], v141, s[6:7] offset:384
	global_load_dwordx4 v[16:19], v141, s[6:7] offset:512
	s_waitcnt lgkmcnt(0)
	v_mad_u64_u32 v[20:21], null, s10, v104, 0
	v_mad_u64_u32 v[22:23], null, s8, v255, 0
	;; [unrolled: 1-line block ×9, first 2 shown]
	v_mov_b32_e32 v34, v37
	v_mad_u64_u32 v[39:40], null, s9, v255, v[23:24]
	v_mad_u64_u32 v[40:41], null, s9, v41, v[25:26]
	;; [unrolled: 1-line block ×7, first 2 shown]
	v_mov_b32_e32 v21, v38
	v_mov_b32_e32 v23, v39
	;; [unrolled: 1-line block ×5, first 2 shown]
	v_lshlrev_b64 v[20:21], 4, v[20:21]
	v_mov_b32_e32 v37, v47
	v_mad_u64_u32 v[47:48], null, s9, v35, v[34:35]
	v_lshlrev_b64 v[38:39], 4, v[32:33]
	v_mov_b32_e32 v25, v40
	v_lshlrev_b64 v[22:23], 4, v[22:23]
	v_mov_b32_e32 v27, v41
	v_add_co_u32 v44, s0, s2, v20
	v_mad_u64_u32 v[42:43], null, s9, v49, v[37:38]
	v_mov_b32_e32 v37, v47
	v_mad_u64_u32 v[48:49], null, s8, v53, 0
	v_mad_u64_u32 v[62:63], null, s8, v55, 0
	v_lshlrev_b64 v[50:51], 4, v[36:37]
	v_lshlrev_b64 v[24:25], 4, v[24:25]
	v_add_co_ci_u32_e64 v45, s0, s3, v21, s0
	v_lshlrev_b64 v[26:27], 4, v[26:27]
	v_add_co_u32 v20, s0, v44, v22
	v_mad_u64_u32 v[53:54], null, s9, v53, v[49:50]
	v_add_co_ci_u32_e64 v21, s0, v45, v23, s0
	v_lshlrev_b64 v[28:29], 4, v[28:29]
	v_add_co_u32 v22, s0, v44, v24
	v_mov_b32_e32 v52, v63
	v_add_co_ci_u32_e64 v23, s0, v45, v25, s0
	v_lshlrev_b64 v[30:31], 4, v[30:31]
	v_add_co_u32 v32, s0, v44, v26
	v_add_co_ci_u32_e64 v33, s0, v45, v27, s0
	v_mad_u64_u32 v[54:55], null, s9, v55, v[52:53]
	v_add_co_u32 v28, s0, v44, v28
	v_mov_b32_e32 v47, v42
	v_add_co_ci_u32_e64 v29, s0, v45, v29, s0
	v_add_co_u32 v40, s0, v44, v30
	v_mov_b32_e32 v49, v53
	v_add_co_ci_u32_e64 v41, s0, v45, v31, s0
	v_add_co_u32 v38, s0, v44, v38
	v_lshlrev_b64 v[46:47], 4, v[46:47]
	v_mov_b32_e32 v63, v54
	v_add_co_ci_u32_e64 v39, s0, v45, v39, s0
	v_add_co_u32 v55, s0, v44, v50
	v_lshlrev_b64 v[64:65], 4, v[48:49]
	v_add_co_ci_u32_e64 v56, s0, v45, v51, s0
	v_add_co_u32 v58, s0, v44, v46
	v_lshlrev_b64 v[62:63], 4, v[62:63]
	v_add_co_ci_u32_e64 v59, s0, v45, v47, s0
	v_add_co_u32 v70, s0, v44, v64
	v_add_co_ci_u32_e64 v71, s0, v45, v65, s0
	v_add_co_u32 v74, s0, v44, v62
	v_add_co_ci_u32_e64 v75, s0, v45, v63, s0
	s_clause 0x5
	global_load_dwordx4 v[24:27], v[20:21], off
	global_load_dwordx4 v[20:23], v[22:23], off
	;; [unrolled: 1-line block ×6, first 2 shown]
	s_clause 0x1
	global_load_dwordx4 v[46:49], v141, s[6:7] offset:640
	global_load_dwordx4 v[50:53], v141, s[6:7] offset:768
	s_clause 0x1
	global_load_dwordx4 v[54:57], v[55:56], off
	global_load_dwordx4 v[58:61], v[58:59], off
	s_clause 0x1
	global_load_dwordx4 v[62:65], v141, s[6:7] offset:896
	global_load_dwordx4 v[66:69], v141, s[6:7] offset:1024
	s_clause 0x1
	global_load_dwordx4 v[70:73], v[70:71], off
	global_load_dwordx4 v[74:77], v[74:75], off
	v_mad_u64_u32 v[102:103], null, s8, v96, 0
	v_mad_u64_u32 v[105:106], null, s8, v121, 0
	;; [unrolled: 1-line block ×4, first 2 shown]
	v_mov_b32_e32 v94, v103
	v_mad_u64_u32 v[113:114], null, s8, v123, 0
	v_mad_u64_u32 v[115:116], null, s8, v125, 0
	;; [unrolled: 1-line block ×3, first 2 shown]
	v_mov_b32_e32 v112, v120
	v_mad_u64_u32 v[120:121], null, s9, v121, v[106:107]
	v_mad_u64_u32 v[117:118], null, s8, v126, 0
	v_mov_b32_e32 v110, v116
	v_mov_b32_e32 v103, v109
	;; [unrolled: 1-line block ×3, first 2 shown]
	s_clause 0x3
	global_load_dwordx4 v[78:81], v141, s[6:7] offset:1152
	global_load_dwordx4 v[82:85], v141, s[6:7] offset:1280
	;; [unrolled: 1-line block ×4, first 2 shown]
	v_mov_b32_e32 v106, v120
	s_clause 0x1
	global_load_dwordx4 v[94:97], v141, s[6:7] offset:1664
	global_load_dwordx4 v[98:101], v141, s[6:7] offset:1792
	v_mov_b32_e32 v111, v118
	v_mad_u64_u32 v[121:122], null, s9, v122, v[108:109]
	v_lshlrev_b64 v[102:103], 4, v[102:103]
	v_mad_u64_u32 v[122:123], null, s9, v123, v[109:110]
	v_lshlrev_b64 v[105:106], 4, v[105:106]
	v_mad_u64_u32 v[109:110], null, s9, v125, v[110:111]
	v_add_co_u32 v102, s0, v44, v102
	v_mad_u64_u32 v[110:111], null, s9, v126, v[111:112]
	v_mad_u64_u32 v[111:112], null, s9, v124, v[112:113]
	v_mov_b32_e32 v108, v121
	v_add_co_ci_u32_e64 v103, s0, v45, v103, s0
	v_add_co_u32 v121, s0, v44, v105
	v_mov_b32_e32 v114, v122
	v_add_co_ci_u32_e64 v122, s0, v45, v106, s0
	v_lshlrev_b64 v[123:124], 4, v[107:108]
	v_mov_b32_e32 v116, v109
	v_mov_b32_e32 v118, v110
	v_mov_b32_e32 v120, v111
	s_clause 0x1
	global_load_dwordx4 v[105:108], v[102:103], off
	global_load_dwordx4 v[109:112], v[121:122], off
	v_lshlrev_b64 v[102:103], 4, v[113:114]
	v_add_co_u32 v113, s0, v44, v123
	v_lshlrev_b64 v[115:116], 4, v[115:116]
	v_add_co_ci_u32_e64 v114, s0, v45, v124, s0
	v_lshlrev_b64 v[117:118], 4, v[117:118]
	v_add_co_u32 v102, s0, v44, v102
	v_add_co_ci_u32_e64 v103, s0, v45, v103, s0
	v_lshlrev_b64 v[121:122], 4, v[119:120]
	v_add_co_u32 v123, s0, v44, v115
	v_add_co_ci_u32_e64 v124, s0, v45, v116, s0
	v_add_co_u32 v129, s0, v44, v117
	v_add_co_ci_u32_e64 v130, s0, v45, v118, s0
	s_clause 0x1
	global_load_dwordx4 v[113:116], v[113:114], off
	global_load_dwordx4 v[117:120], v[102:103], off
	v_add_co_u32 v44, s0, v44, v121
	v_add_co_ci_u32_e64 v45, s0, v45, v122, s0
	global_load_dwordx4 v[121:124], v[123:124], off
	global_load_dwordx4 v[125:128], v141, s[6:7] offset:1920
	global_load_dwordx4 v[129:132], v[129:130], off
	global_load_dwordx4 v[133:136], v133, s[6:7]
	global_load_dwordx4 v[137:140], v[44:45], off
	s_waitcnt vmcnt(28)
	v_mul_f64 v[44:45], v[26:27], v[2:3]
	v_mul_f64 v[2:3], v[24:25], v[2:3]
	s_waitcnt vmcnt(27)
	v_mul_f64 v[102:103], v[22:23], v[6:7]
	v_mul_f64 v[6:7], v[20:21], v[6:7]
	;; [unrolled: 3-line block ×4, first 2 shown]
	v_mul_f64 v[145:146], v[30:31], v[14:15]
	v_mul_f64 v[14:15], v[28:29], v[14:15]
	;; [unrolled: 1-line block ×10, first 2 shown]
	v_fma_f64 v[24:25], v[24:25], v[0:1], v[44:45]
	v_fma_f64 v[26:27], v[26:27], v[0:1], -v[2:3]
	v_fma_f64 v[0:1], v[20:21], v[4:5], v[102:103]
	v_fma_f64 v[2:3], v[22:23], v[4:5], -v[6:7]
	s_waitcnt vmcnt(14)
	v_mul_f64 v[157:158], v[76:77], v[80:81]
	v_fma_f64 v[6:7], v[34:35], v[8:9], -v[10:11]
	v_mul_f64 v[80:81], v[74:75], v[80:81]
	v_fma_f64 v[34:35], v[72:73], v[66:67], -v[68:69]
	buffer_load_dword v69, off, s[56:59], 0 ; 4-byte Folded Reload
	v_fma_f64 v[4:5], v[32:33], v[8:9], v[143:144]
	v_fma_f64 v[8:9], v[28:29], v[12:13], v[145:146]
	v_fma_f64 v[10:11], v[30:31], v[12:13], -v[14:15]
	v_fma_f64 v[12:13], v[40:41], v[16:17], v[147:148]
	v_fma_f64 v[14:15], v[42:43], v[16:17], -v[18:19]
	;; [unrolled: 2-line block ×5, first 2 shown]
	v_fma_f64 v[32:33], v[70:71], v[66:67], v[155:156]
	v_lshl_add_u32 v68, v142, 4, v141
	v_fma_f64 v[36:37], v[74:75], v[78:79], v[157:158]
	v_fma_f64 v[38:39], v[76:77], v[78:79], -v[80:81]
	s_waitcnt vmcnt(9)
	v_mul_f64 v[159:160], v[107:108], v[84:85]
	v_mul_f64 v[84:85], v[105:106], v[84:85]
	s_waitcnt vmcnt(8)
	v_mul_f64 v[161:162], v[111:112], v[88:89]
	v_mul_f64 v[88:89], v[109:110], v[88:89]
	;; [unrolled: 3-line block ×7, first 2 shown]
	v_fma_f64 v[40:41], v[105:106], v[82:83], v[159:160]
	v_fma_f64 v[42:43], v[107:108], v[82:83], -v[84:85]
	v_fma_f64 v[44:45], v[109:110], v[86:87], v[161:162]
	v_fma_f64 v[46:47], v[111:112], v[86:87], -v[88:89]
	;; [unrolled: 2-line block ×7, first 2 shown]
	s_waitcnt vmcnt(0)
	ds_write_b128 v69, v[24:27]
	ds_write_b128 v68, v[0:3] offset:128
	ds_write_b128 v68, v[4:7] offset:256
	;; [unrolled: 1-line block ×16, first 2 shown]
.LBB0_3:
	s_or_b32 exec_lo, exec_lo, s1
	s_load_dwordx2 s[0:1], s[4:5], 0x20
	v_lshlrev_b32_e32 v0, 4, v142
                                        ; implicit-def: $vgpr70_vgpr71
                                        ; implicit-def: $vgpr62_vgpr63
                                        ; implicit-def: $vgpr42_vgpr43
                                        ; implicit-def: $vgpr80_vgpr81
                                        ; implicit-def: $vgpr92_vgpr93
                                        ; implicit-def: $vgpr96_vgpr97
                                        ; implicit-def: $vgpr100_vgpr101
                                        ; implicit-def: $vgpr84_vgpr85
                                        ; implicit-def: $vgpr56_vgpr57
                                        ; implicit-def: $vgpr52_vgpr53
                                        ; implicit-def: $vgpr48_vgpr49
                                        ; implicit-def: $vgpr44_vgpr45
                                        ; implicit-def: $vgpr36_vgpr37
                                        ; implicit-def: $vgpr88_vgpr89
                                        ; implicit-def: $vgpr76_vgpr77
                                        ; implicit-def: $vgpr72_vgpr73
                                        ; implicit-def: $vgpr64_vgpr65
	buffer_store_dword v0, off, s[56:59], 0 offset:4 ; 4-byte Folded Spill
	s_waitcnt lgkmcnt(0)
	s_waitcnt_vscnt null, 0x0
	s_barrier
	buffer_gl0_inv
	s_and_saveexec_b32 s2, vcc_lo
	s_cbranch_execz .LBB0_5
; %bb.4:
	buffer_load_dword v1, off, s[56:59], 0  ; 4-byte Folded Reload
	v_lshlrev_b32_e32 v0, 4, v142
	v_lshl_add_u32 v0, v255, 4, v0
	s_waitcnt vmcnt(0)
	ds_read_b128 v[40:43], v1
	ds_read_b128 v[64:67], v0 offset:128
	ds_read_b128 v[60:63], v0 offset:256
	;; [unrolled: 1-line block ×16, first 2 shown]
.LBB0_5:
	s_or_b32 exec_lo, exec_lo, s2
	s_waitcnt lgkmcnt(0)
	v_add_f64 v[28:29], v[66:67], -v[38:39]
	v_add_f64 v[30:31], v[64:65], -v[36:37]
	s_mov_b32 s24, 0x5d8e7cdc
	s_mov_b32 s25, 0xbfd71e95
	v_add_f64 v[34:35], v[62:63], -v[46:47]
	v_add_f64 v[32:33], v[60:61], -v[44:45]
	s_mov_b32 s26, 0x2a9d6da3
	s_mov_b32 s27, 0xbfe58eea
	;; [unrolled: 4-line block ×3, first 2 shown]
	v_add_f64 v[145:146], v[36:37], v[64:65]
	v_add_f64 v[155:156], v[38:39], v[66:67]
	s_mov_b32 s2, 0x370991
	s_mov_b32 s3, 0x3fedd6d0
	v_add_f64 v[105:106], v[60:61], v[44:45]
	v_add_f64 v[107:108], v[62:63], v[46:47]
	s_mov_b32 s8, 0x75d4884
	s_mov_b32 s9, 0x3fe7a5f6
	v_add_f64 v[115:116], v[50:51], v[74:75]
	s_mov_b32 s10, 0x2b2883cd
	v_mul_f64 v[0:1], v[28:29], s[24:25]
	v_mul_f64 v[2:3], v[30:31], s[24:25]
	s_mov_b32 s11, 0x3fdc86fa
	v_add_f64 v[247:248], v[78:79], -v[54:55]
	v_mul_f64 v[4:5], v[34:35], s[26:27]
	v_mul_f64 v[6:7], v[32:33], s[26:27]
	v_add_f64 v[249:250], v[76:77], -v[52:53]
	s_mov_b32 s28, 0xeb564b22
	v_mul_f64 v[8:9], v[243:244], s[36:37]
	v_mul_f64 v[12:13], v[245:246], s[36:37]
	s_mov_b32 s29, 0xbfefdd0d
	v_add_f64 v[125:126], v[54:55], v[78:79]
	s_mov_b32 s14, 0x3259b75e
	s_mov_b32 s15, 0x3fb79ee6
	v_add_f64 v[251:252], v[70:71], -v[58:59]
	s_mov_b32 s30, 0x923c349f
	s_mov_b32 s31, 0xbfeec746
	v_add_f64 v[109:110], v[48:49], v[72:73]
	v_add_f64 v[119:120], v[52:53], v[76:77]
	;; [unrolled: 1-line block ×3, first 2 shown]
	s_mov_b32 s20, 0xc61f0d01
	s_mov_b32 s21, 0xbfd183b1
	buffer_store_dword v0, off, s[56:59], 0 offset:88 ; 4-byte Folded Spill
	buffer_store_dword v1, off, s[56:59], 0 offset:92 ; 4-byte Folded Spill
	buffer_store_dword v2, off, s[56:59], 0 offset:112 ; 4-byte Folded Spill
	buffer_store_dword v3, off, s[56:59], 0 offset:116 ; 4-byte Folded Spill
	buffer_store_dword v4, off, s[56:59], 0 offset:8 ; 4-byte Folded Spill
	buffer_store_dword v5, off, s[56:59], 0 offset:12 ; 4-byte Folded Spill
	buffer_store_dword v6, off, s[56:59], 0 offset:16 ; 4-byte Folded Spill
	buffer_store_dword v7, off, s[56:59], 0 offset:20 ; 4-byte Folded Spill
	buffer_store_dword v8, off, s[56:59], 0 offset:32 ; 4-byte Folded Spill
	buffer_store_dword v9, off, s[56:59], 0 offset:36 ; 4-byte Folded Spill
	buffer_store_dword v12, off, s[56:59], 0 offset:40 ; 4-byte Folded Spill
	buffer_store_dword v13, off, s[56:59], 0 offset:44 ; 4-byte Folded Spill
	v_mul_f64 v[10:11], v[247:248], s[28:29]
	buffer_store_dword v10, off, s[56:59], 0 offset:24 ; 4-byte Folded Spill
	buffer_store_dword v11, off, s[56:59], 0 offset:28 ; 4-byte Folded Spill
	v_add_f64 v[253:254], v[68:69], -v[56:57]
	v_add_f64 v[135:136], v[70:71], v[58:59]
	v_add_f64 v[113:114], v[90:91], -v[86:87]
	s_mov_b32 s34, 0x6c9a05f6
	s_mov_b32 s35, 0xbfe9895b
	v_add_f64 v[151:152], v[84:85], v[88:89]
	s_mov_b32 s16, 0x6ed5f1bb
	s_mov_b32 s17, 0xbfe348c8
	v_add_f64 v[117:118], v[88:89], -v[84:85]
	v_add_f64 v[163:164], v[86:87], v[90:91]
	v_add_f64 v[121:122], v[82:83], -v[102:103]
	s_mov_b32 s38, 0x4363dd80
	s_mov_b32 s39, 0xbfe0d888
	v_add_f64 v[139:140], v[80:81], v[100:101]
	s_mov_b32 s18, 0x910ea3b9
	s_mov_b32 s19, 0xbfeb34fa
	;; [unrolled: 8-line block ×3, first 2 shown]
	v_add_f64 v[129:130], v[92:93], -v[96:97]
	v_add_f64 v[167:168], v[94:95], v[98:99]
	s_mov_b32 s51, 0x3fe0d888
	s_mov_b32 s50, s38
	;; [unrolled: 1-line block ×8, first 2 shown]
	v_mul_f64 v[149:150], v[30:31], s[36:37]
	s_mov_b32 s47, 0x3fc7851a
	s_mov_b32 s46, s40
	v_mul_f64 v[14:15], v[34:35], s[40:41]
	v_mul_f64 v[16:17], v[32:33], s[40:41]
	;; [unrolled: 1-line block ×4, first 2 shown]
	s_mov_b32 s53, 0x3fe9895b
	s_mov_b32 s52, s34
	v_mul_f64 v[18:19], v[34:35], s[50:51]
	v_mul_f64 v[199:200], v[28:29], s[30:31]
	;; [unrolled: 1-line block ×25, first 2 shown]
	v_fma_f64 v[20:21], v[107:108], s[18:19], -v[147:148]
	v_mul_f64 v[213:214], v[32:33], s[42:43]
	v_mul_f64 v[217:218], v[245:246], s[28:29]
	;; [unrolled: 1-line block ×5, first 2 shown]
	v_fma_f64 v[22:23], v[105:106], s[20:21], v[173:174]
	s_load_dwordx2 s[4:5], s[4:5], 0x8
	v_fma_f64 v[24:25], v[107:108], s[20:21], -v[181:182]
	v_fma_f64 v[26:27], v[105:106], s[10:11], v[207:208]
	v_fma_f64 v[209:210], v[107:108], s[10:11], -v[213:214]
	v_fma_f64 v[0:1], v[145:146], s[2:3], v[0:1]
	;; [unrolled: 2-line block ×4, first 2 shown]
	v_add_f64 v[0:1], v[40:41], v[0:1]
	v_add_f64 v[2:3], v[42:43], v[2:3]
	;; [unrolled: 1-line block ×3, first 2 shown]
	v_fma_f64 v[4:5], v[115:116], s[10:11], -v[12:13]
	v_add_f64 v[2:3], v[6:7], v[2:3]
	v_fma_f64 v[6:7], v[119:120], s[14:15], v[10:11]
	v_mul_f64 v[10:11], v[34:35], s[34:35]
	v_mul_f64 v[12:13], v[32:33], s[34:35]
	v_add_f64 v[0:1], v[8:9], v[0:1]
	v_mul_f64 v[8:9], v[32:33], s[28:29]
	v_add_f64 v[2:3], v[4:5], v[2:3]
	v_mul_f64 v[4:5], v[249:250], s[28:29]
	buffer_store_dword v4, off, s[56:59], 0 offset:48 ; 4-byte Folded Spill
	buffer_store_dword v5, off, s[56:59], 0 offset:52 ; 4-byte Folded Spill
	v_add_f64 v[0:1], v[6:7], v[0:1]
	v_mul_f64 v[6:7], v[34:35], s[28:29]
	v_fma_f64 v[4:5], v[125:126], s[14:15], -v[4:5]
	v_add_f64 v[2:3], v[4:5], v[2:3]
	v_mul_f64 v[4:5], v[251:252], s[30:31]
	buffer_store_dword v4, off, s[56:59], 0 offset:56 ; 4-byte Folded Spill
	buffer_store_dword v5, off, s[56:59], 0 offset:60 ; 4-byte Folded Spill
	v_fma_f64 v[4:5], v[131:132], s[20:21], v[4:5]
	v_add_f64 v[0:1], v[4:5], v[0:1]
	v_mul_f64 v[4:5], v[253:254], s[30:31]
	buffer_store_dword v4, off, s[56:59], 0 offset:64 ; 4-byte Folded Spill
	buffer_store_dword v5, off, s[56:59], 0 offset:68 ; 4-byte Folded Spill
	v_fma_f64 v[4:5], v[135:136], s[20:21], -v[4:5]
	v_add_f64 v[2:3], v[4:5], v[2:3]
	v_mul_f64 v[4:5], v[113:114], s[34:35]
	buffer_store_dword v4, off, s[56:59], 0 offset:96 ; 4-byte Folded Spill
	buffer_store_dword v5, off, s[56:59], 0 offset:100 ; 4-byte Folded Spill
	v_fma_f64 v[4:5], v[151:152], s[16:17], v[4:5]
	v_add_f64 v[0:1], v[4:5], v[0:1]
	v_mul_f64 v[4:5], v[117:118], s[34:35]
	buffer_store_dword v4, off, s[56:59], 0 offset:120 ; 4-byte Folded Spill
	buffer_store_dword v5, off, s[56:59], 0 offset:124 ; 4-byte Folded Spill
	;; [unrolled: 10-line block ×4, first 2 shown]
	v_fma_f64 v[4:5], v[167:168], s[22:23], -v[4:5]
	v_add_f64 v[2:3], v[4:5], v[2:3]
	v_mul_f64 v[4:5], v[28:29], s[26:27]
	buffer_store_dword v4, off, s[56:59], 0 offset:456 ; 4-byte Folded Spill
	buffer_store_dword v5, off, s[56:59], 0 offset:460 ; 4-byte Folded Spill
	;; [unrolled: 1-line block ×4, first 2 shown]
	v_fma_f64 v[4:5], v[145:146], s[8:9], v[4:5]
	v_fma_f64 v[6:7], v[105:106], s[14:15], v[6:7]
	v_add_f64 v[4:5], v[40:41], v[4:5]
	v_add_f64 v[4:5], v[6:7], v[4:5]
	v_mul_f64 v[6:7], v[30:31], s[26:27]
	v_mul_f64 v[30:31], v[30:31], s[40:41]
	buffer_store_dword v6, off, s[56:59], 0 offset:488 ; 4-byte Folded Spill
	buffer_store_dword v7, off, s[56:59], 0 offset:492 ; 4-byte Folded Spill
	buffer_store_dword v8, off, s[56:59], 0 offset:272 ; 4-byte Folded Spill
	buffer_store_dword v9, off, s[56:59], 0 offset:276 ; 4-byte Folded Spill
	v_fma_f64 v[6:7], v[155:156], s[8:9], -v[6:7]
	v_fma_f64 v[8:9], v[107:108], s[14:15], -v[8:9]
	v_add_f64 v[6:7], v[42:43], v[6:7]
	v_add_f64 v[6:7], v[8:9], v[6:7]
	v_mul_f64 v[8:9], v[243:244], s[34:35]
	buffer_store_dword v8, off, s[56:59], 0 offset:248 ; 4-byte Folded Spill
	buffer_store_dword v9, off, s[56:59], 0 offset:252 ; 4-byte Folded Spill
	v_fma_f64 v[8:9], v[109:110], s[16:17], v[8:9]
	v_add_f64 v[4:5], v[8:9], v[4:5]
	v_mul_f64 v[8:9], v[245:246], s[34:35]
	buffer_store_dword v8, off, s[56:59], 0 offset:288 ; 4-byte Folded Spill
	buffer_store_dword v9, off, s[56:59], 0 offset:292 ; 4-byte Folded Spill
	v_fma_f64 v[8:9], v[115:116], s[16:17], -v[8:9]
	v_add_f64 v[6:7], v[8:9], v[6:7]
	v_mul_f64 v[8:9], v[247:248], s[40:41]
	buffer_store_dword v8, off, s[56:59], 0 offset:216 ; 4-byte Folded Spill
	buffer_store_dword v9, off, s[56:59], 0 offset:220 ; 4-byte Folded Spill
	v_fma_f64 v[8:9], v[119:120], s[22:23], v[8:9]
	v_add_f64 v[4:5], v[8:9], v[4:5]
	v_mul_f64 v[8:9], v[249:250], s[40:41]
	buffer_store_dword v8, off, s[56:59], 0 offset:256 ; 4-byte Folded Spill
	buffer_store_dword v9, off, s[56:59], 0 offset:260 ; 4-byte Folded Spill
	v_fma_f64 v[8:9], v[125:126], s[22:23], -v[8:9]
	;; [unrolled: 10-line block ×6, first 2 shown]
	v_add_f64 v[6:7], v[8:9], v[6:7]
	v_mul_f64 v[8:9], v[28:29], s[36:37]
	buffer_store_dword v8, off, s[56:59], 0 offset:544 ; 4-byte Folded Spill
	buffer_store_dword v9, off, s[56:59], 0 offset:548 ; 4-byte Folded Spill
	;; [unrolled: 1-line block ×6, first 2 shown]
	v_mul_f64 v[28:29], v[28:29], s[40:41]
	v_fma_f64 v[8:9], v[145:146], s[10:11], v[8:9]
	v_fma_f64 v[10:11], v[105:106], s[16:17], v[10:11]
	v_fma_f64 v[12:13], v[107:108], s[16:17], -v[12:13]
	v_add_f64 v[8:9], v[40:41], v[8:9]
	v_add_f64 v[8:9], v[10:11], v[8:9]
	v_fma_f64 v[10:11], v[155:156], s[10:11], -v[149:150]
	v_add_f64 v[10:11], v[42:43], v[10:11]
	v_add_f64 v[10:11], v[12:13], v[10:11]
	v_mul_f64 v[12:13], v[243:244], s[46:47]
	buffer_store_dword v12, off, s[56:59], 0 offset:320 ; 4-byte Folded Spill
	buffer_store_dword v13, off, s[56:59], 0 offset:324 ; 4-byte Folded Spill
	v_fma_f64 v[12:13], v[109:110], s[22:23], v[12:13]
	v_add_f64 v[8:9], v[12:13], v[8:9]
	v_mul_f64 v[12:13], v[245:246], s[46:47]
	buffer_store_dword v12, off, s[56:59], 0 offset:376 ; 4-byte Folded Spill
	buffer_store_dword v13, off, s[56:59], 0 offset:380 ; 4-byte Folded Spill
	s_mov_b32 s47, 0x3fe58eea
	s_mov_b32 s46, s26
	v_mul_f64 v[159:160], v[245:246], s[46:47]
	v_mul_f64 v[235:236], v[123:124], s[46:47]
	v_fma_f64 v[12:13], v[115:116], s[22:23], -v[12:13]
	v_add_f64 v[10:11], v[12:13], v[10:11]
	v_mul_f64 v[12:13], v[247:248], s[48:49]
	buffer_store_dword v12, off, s[56:59], 0 offset:368 ; 4-byte Folded Spill
	buffer_store_dword v13, off, s[56:59], 0 offset:372 ; 4-byte Folded Spill
	v_fma_f64 v[12:13], v[119:120], s[20:21], v[12:13]
	v_add_f64 v[8:9], v[12:13], v[8:9]
	v_mul_f64 v[12:13], v[249:250], s[48:49]
	buffer_store_dword v12, off, s[56:59], 0 offset:392 ; 4-byte Folded Spill
	buffer_store_dword v13, off, s[56:59], 0 offset:396 ; 4-byte Folded Spill
	v_fma_f64 v[12:13], v[125:126], s[20:21], -v[12:13]
	v_add_f64 v[10:11], v[12:13], v[10:11]
	v_mul_f64 v[12:13], v[251:252], s[46:47]
	buffer_store_dword v12, off, s[56:59], 0 offset:328 ; 4-byte Folded Spill
	buffer_store_dword v13, off, s[56:59], 0 offset:332 ; 4-byte Folded Spill
	v_fma_f64 v[12:13], v[131:132], s[8:9], v[12:13]
	v_add_f64 v[8:9], v[12:13], v[8:9]
	v_mul_f64 v[12:13], v[253:254], s[46:47]
	buffer_store_dword v12, off, s[56:59], 0 offset:408 ; 4-byte Folded Spill
	buffer_store_dword v13, off, s[56:59], 0 offset:412 ; 4-byte Folded Spill
	v_fma_f64 v[12:13], v[135:136], s[8:9], -v[12:13]
	v_add_f64 v[10:11], v[12:13], v[10:11]
	v_mul_f64 v[12:13], v[113:114], s[24:25]
	buffer_store_dword v12, off, s[56:59], 0 offset:296 ; 4-byte Folded Spill
	buffer_store_dword v13, off, s[56:59], 0 offset:300 ; 4-byte Folded Spill
	v_fma_f64 v[12:13], v[151:152], s[2:3], v[12:13]
	v_add_f64 v[8:9], v[12:13], v[8:9]
	v_mul_f64 v[12:13], v[117:118], s[24:25]
	buffer_store_dword v12, off, s[56:59], 0 offset:304 ; 4-byte Folded Spill
	buffer_store_dword v13, off, s[56:59], 0 offset:308 ; 4-byte Folded Spill
	v_fma_f64 v[12:13], v[163:164], s[2:3], -v[12:13]
	v_add_f64 v[10:11], v[12:13], v[10:11]
	v_mul_f64 v[12:13], v[121:122], s[28:29]
	buffer_store_dword v12, off, s[56:59], 0 offset:200 ; 4-byte Folded Spill
	buffer_store_dword v13, off, s[56:59], 0 offset:204 ; 4-byte Folded Spill
	v_fma_f64 v[12:13], v[139:140], s[14:15], v[12:13]
	v_add_f64 v[8:9], v[12:13], v[8:9]
	v_mul_f64 v[12:13], v[123:124], s[28:29]
	buffer_store_dword v12, off, s[56:59], 0 offset:280 ; 4-byte Folded Spill
	buffer_store_dword v13, off, s[56:59], 0 offset:284 ; 4-byte Folded Spill
	v_fma_f64 v[12:13], v[143:144], s[14:15], -v[12:13]
	v_add_f64 v[10:11], v[12:13], v[10:11]
	v_mul_f64 v[12:13], v[127:128], s[38:39]
	buffer_store_dword v12, off, s[56:59], 0 offset:168 ; 4-byte Folded Spill
	buffer_store_dword v13, off, s[56:59], 0 offset:172 ; 4-byte Folded Spill
	v_fma_f64 v[12:13], v[157:158], s[18:19], v[12:13]
	v_add_f64 v[8:9], v[12:13], v[8:9]
	v_mul_f64 v[12:13], v[129:130], s[38:39]
	buffer_store_dword v12, off, s[56:59], 0 offset:176 ; 4-byte Folded Spill
	buffer_store_dword v13, off, s[56:59], 0 offset:180 ; 4-byte Folded Spill
	buffer_store_dword v14, off, s[56:59], 0 offset:424 ; 4-byte Folded Spill
	buffer_store_dword v15, off, s[56:59], 0 offset:428 ; 4-byte Folded Spill
	;; [unrolled: 1-line block ×4, first 2 shown]
	v_fma_f64 v[12:13], v[167:168], s[18:19], -v[12:13]
	v_fma_f64 v[14:15], v[105:106], s[22:23], v[14:15]
	v_fma_f64 v[16:17], v[107:108], s[22:23], -v[16:17]
	v_add_f64 v[10:11], v[12:13], v[10:11]
	v_fma_f64 v[12:13], v[145:146], s[14:15], v[171:172]
	v_add_f64 v[12:13], v[40:41], v[12:13]
	v_add_f64 v[12:13], v[14:15], v[12:13]
	v_fma_f64 v[14:15], v[155:156], s[14:15], -v[175:176]
	v_add_f64 v[14:15], v[42:43], v[14:15]
	v_add_f64 v[14:15], v[16:17], v[14:15]
	v_mul_f64 v[16:17], v[243:244], s[48:49]
	buffer_store_dword v16, off, s[56:59], 0 offset:432 ; 4-byte Folded Spill
	buffer_store_dword v17, off, s[56:59], 0 offset:436 ; 4-byte Folded Spill
	v_fma_f64 v[16:17], v[109:110], s[20:21], v[16:17]
	v_add_f64 v[12:13], v[16:17], v[12:13]
	v_mul_f64 v[16:17], v[245:246], s[48:49]
	buffer_store_dword v16, off, s[56:59], 0 offset:480 ; 4-byte Folded Spill
	buffer_store_dword v17, off, s[56:59], 0 offset:484 ; 4-byte Folded Spill
	v_fma_f64 v[16:17], v[115:116], s[20:21], -v[16:17]
	v_add_f64 v[14:15], v[16:17], v[14:15]
	v_mul_f64 v[16:17], v[247:248], s[44:45]
	buffer_store_dword v16, off, s[56:59], 0 offset:464 ; 4-byte Folded Spill
	buffer_store_dword v17, off, s[56:59], 0 offset:468 ; 4-byte Folded Spill
	v_fma_f64 v[16:17], v[119:120], s[2:3], v[16:17]
	v_add_f64 v[12:13], v[16:17], v[12:13]
	v_mul_f64 v[16:17], v[249:250], s[44:45]
	buffer_store_dword v16, off, s[56:59], 0 offset:512 ; 4-byte Folded Spill
	buffer_store_dword v17, off, s[56:59], 0 offset:516 ; 4-byte Folded Spill
	v_fma_f64 v[16:17], v[125:126], s[2:3], -v[16:17]
	v_add_f64 v[14:15], v[16:17], v[14:15]
	v_mul_f64 v[16:17], v[251:252], s[36:37]
	buffer_store_dword v16, off, s[56:59], 0 offset:496 ; 4-byte Folded Spill
	buffer_store_dword v17, off, s[56:59], 0 offset:500 ; 4-byte Folded Spill
	v_fma_f64 v[16:17], v[131:132], s[10:11], v[16:17]
	v_add_f64 v[12:13], v[16:17], v[12:13]
	v_mul_f64 v[16:17], v[253:254], s[36:37]
	buffer_store_dword v16, off, s[56:59], 0 offset:528 ; 4-byte Folded Spill
	buffer_store_dword v17, off, s[56:59], 0 offset:532 ; 4-byte Folded Spill
	s_mov_b32 s37, 0x3fefdd0d
	s_mov_b32 s36, s28
	v_mul_f64 v[183:184], v[251:252], s[36:37]
	v_mul_f64 v[193:194], v[253:254], s[36:37]
	v_fma_f64 v[16:17], v[135:136], s[10:11], -v[16:17]
	v_add_f64 v[14:15], v[16:17], v[14:15]
	v_mul_f64 v[16:17], v[113:114], s[38:39]
	buffer_store_dword v16, off, s[56:59], 0 offset:400 ; 4-byte Folded Spill
	buffer_store_dword v17, off, s[56:59], 0 offset:404 ; 4-byte Folded Spill
	v_fma_f64 v[16:17], v[151:152], s[18:19], v[16:17]
	v_add_f64 v[12:13], v[16:17], v[12:13]
	v_mul_f64 v[16:17], v[117:118], s[38:39]
	buffer_store_dword v16, off, s[56:59], 0 offset:416 ; 4-byte Folded Spill
	buffer_store_dword v17, off, s[56:59], 0 offset:420 ; 4-byte Folded Spill
	v_fma_f64 v[16:17], v[163:164], s[18:19], -v[16:17]
	v_add_f64 v[14:15], v[16:17], v[14:15]
	v_mul_f64 v[16:17], v[121:122], s[52:53]
	buffer_store_dword v16, off, s[56:59], 0 offset:360 ; 4-byte Folded Spill
	buffer_store_dword v17, off, s[56:59], 0 offset:364 ; 4-byte Folded Spill
	v_fma_f64 v[16:17], v[139:140], s[16:17], v[16:17]
	v_add_f64 v[12:13], v[16:17], v[12:13]
	v_mul_f64 v[16:17], v[123:124], s[52:53]
	buffer_store_dword v16, off, s[56:59], 0 offset:384 ; 4-byte Folded Spill
	buffer_store_dword v17, off, s[56:59], 0 offset:388 ; 4-byte Folded Spill
	;; [unrolled: 10-line block ×3, first 2 shown]
	buffer_store_dword v18, off, s[56:59], 0 offset:536 ; 4-byte Folded Spill
	buffer_store_dword v19, off, s[56:59], 0 offset:540 ; 4-byte Folded Spill
	v_fma_f64 v[16:17], v[167:168], s[8:9], -v[16:17]
	v_fma_f64 v[18:19], v[105:106], s[18:19], v[18:19]
	v_add_f64 v[14:15], v[16:17], v[14:15]
	v_fma_f64 v[16:17], v[145:146], s[20:21], v[199:200]
	v_add_f64 v[16:17], v[40:41], v[16:17]
	v_add_f64 v[16:17], v[18:19], v[16:17]
	v_fma_f64 v[18:19], v[155:156], s[20:21], -v[203:204]
	v_add_f64 v[18:19], v[42:43], v[18:19]
	v_add_f64 v[18:19], v[20:21], v[18:19]
	v_mul_f64 v[20:21], v[243:244], s[46:47]
	buffer_store_dword v20, off, s[56:59], 0 offset:552 ; 4-byte Folded Spill
	buffer_store_dword v21, off, s[56:59], 0 offset:556 ; 4-byte Folded Spill
	v_fma_f64 v[20:21], v[109:110], s[8:9], v[20:21]
	v_add_f64 v[16:17], v[20:21], v[16:17]
	v_fma_f64 v[20:21], v[115:116], s[8:9], -v[159:160]
	v_add_f64 v[18:19], v[20:21], v[18:19]
	v_fma_f64 v[20:21], v[119:120], s[10:11], v[153:154]
	v_add_f64 v[16:17], v[20:21], v[16:17]
	v_fma_f64 v[20:21], v[125:126], s[10:11], -v[165:166]
	v_add_f64 v[18:19], v[20:21], v[18:19]
	;; [unrolled: 4-line block ×3, first 2 shown]
	v_mul_f64 v[20:21], v[113:114], s[36:37]
	buffer_store_dword v20, off, s[56:59], 0 offset:504 ; 4-byte Folded Spill
	buffer_store_dword v21, off, s[56:59], 0 offset:508 ; 4-byte Folded Spill
	v_fma_f64 v[20:21], v[151:152], s[14:15], v[20:21]
	v_add_f64 v[16:17], v[20:21], v[16:17]
	v_mul_f64 v[20:21], v[117:118], s[36:37]
	buffer_store_dword v20, off, s[56:59], 0 offset:520 ; 4-byte Folded Spill
	buffer_store_dword v21, off, s[56:59], 0 offset:524 ; 4-byte Folded Spill
	v_mul_f64 v[117:118], v[117:118], s[42:43]
	v_fma_f64 v[20:21], v[163:164], s[14:15], -v[20:21]
	v_add_f64 v[18:19], v[20:21], v[18:19]
	v_mul_f64 v[20:21], v[121:122], s[24:25]
	buffer_store_dword v20, off, s[56:59], 0 offset:448 ; 4-byte Folded Spill
	buffer_store_dword v21, off, s[56:59], 0 offset:452 ; 4-byte Folded Spill
	v_fma_f64 v[20:21], v[139:140], s[2:3], v[20:21]
	v_add_f64 v[16:17], v[20:21], v[16:17]
	v_mul_f64 v[20:21], v[123:124], s[24:25]
	buffer_store_dword v20, off, s[56:59], 0 offset:472 ; 4-byte Folded Spill
	buffer_store_dword v21, off, s[56:59], 0 offset:476 ; 4-byte Folded Spill
	v_mul_f64 v[123:124], v[123:124], s[30:31]
	v_fma_f64 v[20:21], v[143:144], s[2:3], -v[20:21]
	v_add_f64 v[18:19], v[20:21], v[18:19]
	v_mul_f64 v[20:21], v[127:128], s[34:35]
	buffer_store_dword v20, off, s[56:59], 0 offset:312 ; 4-byte Folded Spill
	buffer_store_dword v21, off, s[56:59], 0 offset:316 ; 4-byte Folded Spill
	v_fma_f64 v[20:21], v[157:158], s[16:17], v[20:21]
	v_add_f64 v[16:17], v[20:21], v[16:17]
	v_mul_f64 v[20:21], v[129:130], s[34:35]
	buffer_store_dword v20, off, s[56:59], 0 offset:336 ; 4-byte Folded Spill
	buffer_store_dword v21, off, s[56:59], 0 offset:340 ; 4-byte Folded Spill
	s_waitcnt lgkmcnt(0)
	s_waitcnt_vscnt null, 0x0
	s_barrier
	buffer_gl0_inv
	v_fma_f64 v[20:21], v[167:168], s[16:17], -v[20:21]
	v_add_f64 v[18:19], v[20:21], v[18:19]
	v_fma_f64 v[20:21], v[145:146], s[16:17], v[219:220]
	v_add_f64 v[20:21], v[40:41], v[20:21]
	v_add_f64 v[20:21], v[22:23], v[20:21]
	v_fma_f64 v[22:23], v[155:156], s[16:17], -v[225:226]
	v_add_f64 v[22:23], v[42:43], v[22:23]
	v_add_f64 v[22:23], v[24:25], v[22:23]
	v_fma_f64 v[24:25], v[109:110], s[2:3], v[177:178]
	v_add_f64 v[20:21], v[24:25], v[20:21]
	v_fma_f64 v[24:25], v[115:116], s[2:3], -v[185:186]
	v_add_f64 v[22:23], v[24:25], v[22:23]
	v_fma_f64 v[24:25], v[119:120], s[18:19], v[179:180]
	v_add_f64 v[20:21], v[24:25], v[20:21]
	v_fma_f64 v[24:25], v[125:126], s[18:19], -v[189:190]
	;; [unrolled: 4-line block ×6, first 2 shown]
	v_add_f64 v[22:23], v[24:25], v[22:23]
	v_fma_f64 v[24:25], v[145:146], s[18:19], v[239:240]
	v_add_f64 v[24:25], v[40:41], v[24:25]
	v_add_f64 v[24:25], v[26:27], v[24:25]
	v_fma_f64 v[26:27], v[155:156], s[18:19], -v[241:242]
	v_add_f64 v[26:27], v[42:43], v[26:27]
	v_add_f64 v[26:27], v[209:210], v[26:27]
	v_mul_f64 v[209:210], v[243:244], s[28:29]
	v_fma_f64 v[211:212], v[109:110], s[14:15], v[209:210]
	v_add_f64 v[24:25], v[211:212], v[24:25]
	v_fma_f64 v[211:212], v[115:116], s[14:15], -v[217:218]
	v_add_f64 v[26:27], v[211:212], v[26:27]
	v_mul_f64 v[211:212], v[247:248], s[52:53]
	v_fma_f64 v[215:216], v[119:120], s[16:17], v[211:212]
	v_add_f64 v[24:25], v[215:216], v[24:25]
	v_fma_f64 v[215:216], v[125:126], s[16:17], -v[223:224]
	;; [unrolled: 5-line block ×3, first 2 shown]
	v_add_f64 v[26:27], v[221:222], v[26:27]
	v_mul_f64 v[221:222], v[113:114], s[40:41]
	v_mul_f64 v[113:114], v[113:114], s[42:43]
	v_fma_f64 v[227:228], v[151:152], s[22:23], v[221:222]
	v_add_f64 v[24:25], v[227:228], v[24:25]
	v_fma_f64 v[227:228], v[163:164], s[22:23], -v[233:234]
	v_add_f64 v[26:27], v[227:228], v[26:27]
	v_mul_f64 v[227:228], v[121:122], s[46:47]
	v_mul_f64 v[121:122], v[121:122], s[30:31]
	v_fma_f64 v[231:232], v[139:140], s[8:9], v[227:228]
	v_add_f64 v[24:25], v[231:232], v[24:25]
	v_fma_f64 v[231:232], v[143:144], s[8:9], -v[235:236]
	v_add_f64 v[26:27], v[231:232], v[26:27]
	v_mul_f64 v[231:232], v[127:128], s[30:31]
	v_mul_f64 v[127:128], v[127:128], s[36:37]
	v_fma_f64 v[237:238], v[157:158], s[20:21], v[231:232]
	v_add_f64 v[24:25], v[237:238], v[24:25]
	v_mul_f64 v[237:238], v[129:130], s[30:31]
	v_mul_f64 v[129:130], v[129:130], s[36:37]
	v_fma_f64 v[133:134], v[167:168], s[20:21], -v[237:238]
	v_add_f64 v[26:27], v[133:134], v[26:27]
	v_mul_f64 v[133:134], v[34:35], s[44:45]
	v_fma_f64 v[34:35], v[145:146], s[22:23], -v[28:29]
	v_fma_f64 v[28:29], v[145:146], s[22:23], v[28:29]
	v_fma_f64 v[137:138], v[105:106], s[2:3], -v[133:134]
	v_add_f64 v[34:35], v[40:41], v[34:35]
	v_add_f64 v[28:29], v[40:41], v[28:29]
	v_fma_f64 v[133:134], v[105:106], s[2:3], v[133:134]
	v_add_f64 v[34:35], v[137:138], v[34:35]
	v_mul_f64 v[137:138], v[32:33], s[44:45]
	v_fma_f64 v[32:33], v[155:156], s[22:23], v[30:31]
	v_fma_f64 v[30:31], v[155:156], s[22:23], -v[30:31]
	v_add_f64 v[28:29], v[133:134], v[28:29]
	v_fma_f64 v[111:112], v[107:108], s[2:3], v[137:138]
	v_add_f64 v[32:33], v[42:43], v[32:33]
	v_add_f64 v[30:31], v[42:43], v[30:31]
	v_fma_f64 v[133:134], v[107:108], s[2:3], -v[137:138]
	v_add_f64 v[32:33], v[111:112], v[32:33]
	v_mul_f64 v[111:112], v[243:244], s[38:39]
	v_add_f64 v[30:31], v[133:134], v[30:31]
	v_fma_f64 v[243:244], v[109:110], s[18:19], -v[111:112]
	v_fma_f64 v[111:112], v[109:110], s[18:19], v[111:112]
	v_add_f64 v[34:35], v[243:244], v[34:35]
	v_mul_f64 v[243:244], v[245:246], s[38:39]
	v_add_f64 v[28:29], v[111:112], v[28:29]
	v_fma_f64 v[245:246], v[115:116], s[18:19], v[243:244]
	v_fma_f64 v[111:112], v[115:116], s[18:19], -v[243:244]
	v_mul_lo_u16 v243, v255, 17
	v_add_f64 v[32:33], v[245:246], v[32:33]
	v_mul_f64 v[245:246], v[247:248], s[46:47]
	v_add_f64 v[30:31], v[111:112], v[30:31]
	v_fma_f64 v[247:248], v[119:120], s[8:9], -v[245:246]
	v_fma_f64 v[111:112], v[119:120], s[8:9], v[245:246]
	v_add_f64 v[34:35], v[247:248], v[34:35]
	v_mul_f64 v[247:248], v[249:250], s[46:47]
	v_add_f64 v[28:29], v[111:112], v[28:29]
	v_fma_f64 v[249:250], v[125:126], s[8:9], v[247:248]
	v_fma_f64 v[111:112], v[125:126], s[8:9], -v[247:248]
	v_add_f64 v[32:33], v[249:250], v[32:33]
	v_mul_f64 v[249:250], v[251:252], s[34:35]
	v_add_f64 v[30:31], v[111:112], v[30:31]
	v_fma_f64 v[251:252], v[131:132], s[16:17], -v[249:250]
	v_fma_f64 v[111:112], v[131:132], s[16:17], v[249:250]
	v_add_f64 v[34:35], v[251:252], v[34:35]
	v_mul_f64 v[251:252], v[253:254], s[34:35]
	v_add_f64 v[28:29], v[111:112], v[28:29]
	v_fma_f64 v[253:254], v[135:136], s[16:17], v[251:252]
	v_fma_f64 v[111:112], v[135:136], s[16:17], -v[251:252]
	v_add_f64 v[32:33], v[253:254], v[32:33]
	v_fma_f64 v[253:254], v[151:152], s[10:11], -v[113:114]
	v_add_f64 v[30:31], v[111:112], v[30:31]
	v_fma_f64 v[111:112], v[151:152], s[10:11], v[113:114]
	v_fma_f64 v[113:114], v[167:168], s[14:15], -v[129:130]
	v_add_f64 v[34:35], v[253:254], v[34:35]
	v_fma_f64 v[253:254], v[163:164], s[10:11], v[117:118]
	v_add_f64 v[28:29], v[111:112], v[28:29]
	v_fma_f64 v[111:112], v[163:164], s[10:11], -v[117:118]
	v_add_f64 v[32:33], v[253:254], v[32:33]
	v_fma_f64 v[253:254], v[139:140], s[20:21], -v[121:122]
	v_add_f64 v[30:31], v[111:112], v[30:31]
	v_fma_f64 v[111:112], v[139:140], s[20:21], v[121:122]
	v_add_f64 v[34:35], v[253:254], v[34:35]
	v_fma_f64 v[253:254], v[143:144], s[20:21], v[123:124]
	v_add_f64 v[28:29], v[111:112], v[28:29]
	v_fma_f64 v[111:112], v[143:144], s[20:21], -v[123:124]
	v_add_f64 v[253:254], v[253:254], v[32:33]
	v_fma_f64 v[32:33], v[157:158], s[14:15], -v[127:128]
	v_add_f64 v[30:31], v[111:112], v[30:31]
	v_fma_f64 v[111:112], v[157:158], s[14:15], v[127:128]
	v_add_f64 v[32:33], v[32:33], v[34:35]
	v_fma_f64 v[34:35], v[167:168], s[14:15], v[129:130]
	v_add_f64 v[28:29], v[111:112], v[28:29]
	v_add_f64 v[30:31], v[113:114], v[30:31]
	;; [unrolled: 1-line block ×3, first 2 shown]
	s_and_saveexec_b32 s24, vcc_lo
	s_cbranch_execz .LBB0_7
; %bb.6:
	v_add_f64 v[64:65], v[40:41], v[64:65]
	v_add_f64 v[66:67], v[42:43], v[66:67]
	v_mul_f64 v[123:124], v[107:108], s[20:21]
	v_mul_f64 v[137:138], v[131:132], s[14:15]
	;; [unrolled: 1-line block ×9, first 2 shown]
	v_add_f64 v[60:61], v[60:61], v[64:65]
	v_add_f64 v[62:63], v[62:63], v[66:67]
	v_mul_f64 v[64:65], v[155:156], s[14:15]
	v_mul_f64 v[66:67], v[145:146], s[14:15]
	v_add_f64 v[123:124], v[181:182], v[123:124]
	v_add_f64 v[137:138], v[137:138], -v[183:184]
	v_add_f64 v[121:122], v[185:186], v[121:122]
	v_add_f64 v[133:134], v[133:134], -v[187:188]
	v_add_f64 v[117:118], v[189:190], v[117:118]
	v_add_f64 v[129:130], v[129:130], -v[191:192]
	v_add_f64 v[113:114], v[193:194], v[113:114]
	v_add_f64 v[127:128], v[127:128], -v[195:196]
	v_add_f64 v[111:112], v[197:198], v[111:112]
	v_add_f64 v[60:61], v[72:73], v[60:61]
	s_clause 0x1
	buffer_load_dword v72, off, s[56:59], 0 offset:544
	buffer_load_dword v73, off, s[56:59], 0 offset:548
	v_add_f64 v[62:63], v[74:75], v[62:63]
	s_clause 0x1
	buffer_load_dword v74, off, s[56:59], 0 offset:488
	buffer_load_dword v75, off, s[56:59], 0 offset:492
	v_add_f64 v[64:65], v[175:176], v[64:65]
	v_add_f64 v[66:67], v[66:67], -v[171:172]
	v_mul_f64 v[171:172], v[135:136], s[22:23]
	v_add_f64 v[60:61], v[76:77], v[60:61]
	s_clause 0x1
	buffer_load_dword v76, off, s[56:59], 0 offset:456
	buffer_load_dword v77, off, s[56:59], 0 offset:460
	v_add_f64 v[62:63], v[78:79], v[62:63]
	s_clause 0x1
	buffer_load_dword v78, off, s[56:59], 0 offset:112
	buffer_load_dword v79, off, s[56:59], 0 offset:116
	v_add_f64 v[64:65], v[42:43], v[64:65]
	v_add_f64 v[66:67], v[40:41], v[66:67]
	v_add_f64 v[169:170], v[169:170], v[171:172]
	v_mul_f64 v[171:172], v[125:126], s[10:11]
	v_add_f64 v[60:61], v[68:69], v[60:61]
	v_mul_f64 v[68:69], v[155:156], s[10:11]
	v_add_f64 v[62:63], v[70:71], v[62:63]
	;; [unrolled: 2-line block ×4, first 2 shown]
	v_add_f64 v[68:69], v[149:150], v[68:69]
	v_add_f64 v[62:63], v[90:91], v[62:63]
	v_mul_f64 v[149:150], v[109:110], s[2:3]
	v_mul_f64 v[90:91], v[151:152], s[22:23]
	;; [unrolled: 1-line block ×3, first 2 shown]
	v_add_f64 v[159:160], v[159:160], v[171:172]
	v_mul_f64 v[171:172], v[107:108], s[18:19]
	v_add_f64 v[60:61], v[80:81], v[60:61]
	s_clause 0x1
	buffer_load_dword v80, off, s[56:59], 0 offset:88
	buffer_load_dword v81, off, s[56:59], 0 offset:92
	v_add_f64 v[62:63], v[82:83], v[62:63]
	v_add_f64 v[149:150], v[149:150], -v[177:178]
	v_mul_f64 v[82:83], v[115:116], s[14:15]
	v_add_f64 v[90:91], v[90:91], -v[221:222]
	v_add_f64 v[88:89], v[88:89], -v[227:228]
	v_add_f64 v[68:69], v[42:43], v[68:69]
	v_add_f64 v[147:148], v[147:148], v[171:172]
	v_mul_f64 v[171:172], v[131:132], s[22:23]
	v_add_f64 v[60:61], v[92:93], v[60:61]
	v_mul_f64 v[92:93], v[131:132], s[2:3]
	;; [unrolled: 2-line block ×3, first 2 shown]
	v_add_f64 v[82:83], v[217:218], v[82:83]
	v_add_f64 v[161:162], v[171:172], -v[161:162]
	v_mul_f64 v[171:172], v[119:120], s[10:11]
	v_add_f64 v[60:61], v[96:97], v[60:61]
	v_mul_f64 v[96:97], v[109:110], s[14:15]
	v_add_f64 v[62:63], v[98:99], v[62:63]
	v_mul_f64 v[98:99], v[105:106], s[10:11]
	v_add_f64 v[94:95], v[94:95], -v[211:212]
	v_add_f64 v[92:93], v[92:93], -v[215:216]
	;; [unrolled: 1-line block ×3, first 2 shown]
	v_mul_f64 v[171:172], v[109:110], s[8:9]
	v_add_f64 v[60:61], v[100:101], v[60:61]
	v_mul_f64 v[100:101], v[167:168], s[10:11]
	v_add_f64 v[62:63], v[102:103], v[62:63]
	v_mul_f64 v[102:103], v[143:144], s[22:23]
	v_add_f64 v[98:99], v[98:99], -v[207:208]
	v_add_f64 v[96:97], v[96:97], -v[209:210]
	v_add_f64 v[60:61], v[84:85], v[60:61]
	v_add_f64 v[100:101], v[205:206], v[100:101]
	;; [unrolled: 1-line block ×4, first 2 shown]
	v_mul_f64 v[84:85], v[107:108], s[10:11]
	v_mul_f64 v[86:87], v[157:158], s[20:21]
	v_add_f64 v[56:57], v[56:57], v[60:61]
	v_mul_f64 v[60:61], v[155:156], s[20:21]
	v_add_f64 v[58:59], v[58:59], v[62:63]
	v_mul_f64 v[62:63], v[145:146], s[20:21]
	v_add_f64 v[84:85], v[213:214], v[84:85]
	v_add_f64 v[86:87], v[86:87], -v[231:232]
	v_add_f64 v[52:53], v[52:53], v[56:57]
	v_mul_f64 v[56:57], v[155:156], s[16:17]
	v_add_f64 v[54:55], v[54:55], v[58:59]
	v_mul_f64 v[58:59], v[145:146], s[16:17]
	v_add_f64 v[62:63], v[62:63], -v[199:200]
	v_add_f64 v[60:61], v[203:204], v[60:61]
	v_add_f64 v[48:49], v[48:49], v[52:53]
	v_mul_f64 v[52:53], v[155:156], s[18:19]
	v_add_f64 v[50:51], v[50:51], v[54:55]
	v_mul_f64 v[54:55], v[145:146], s[18:19]
	v_add_f64 v[58:59], v[58:59], -v[219:220]
	v_add_f64 v[62:63], v[40:41], v[62:63]
	v_add_f64 v[56:57], v[225:226], v[56:57]
	;; [unrolled: 1-line block ×5, first 2 shown]
	v_add_f64 v[54:55], v[54:55], -v[239:240]
	v_add_f64 v[58:59], v[40:41], v[58:59]
	v_add_f64 v[50:51], v[44:45], v[48:49]
	;; [unrolled: 1-line block ×3, first 2 shown]
	v_mul_f64 v[48:49], v[143:144], s[8:9]
	v_mul_f64 v[44:45], v[167:168], s[20:21]
	v_add_f64 v[60:61], v[147:148], v[60:61]
	v_add_f64 v[52:53], v[42:43], v[52:53]
	;; [unrolled: 1-line block ×8, first 2 shown]
	v_mul_f64 v[84:85], v[143:144], s[16:17]
	v_add_f64 v[54:55], v[98:99], v[54:55]
	v_add_f64 v[56:57], v[121:122], v[56:57]
	;; [unrolled: 1-line block ×3, first 2 shown]
	s_waitcnt vmcnt(8)
	v_add_f64 v[70:71], v[70:71], -v[72:73]
	v_mul_f64 v[72:73], v[155:156], s[8:9]
	v_add_f64 v[52:53], v[82:83], v[52:53]
	v_mul_f64 v[82:83], v[139:140], s[16:17]
	v_add_f64 v[54:55], v[96:97], v[54:55]
	v_add_f64 v[56:57], v[117:118], v[56:57]
	;; [unrolled: 1-line block ×4, first 2 shown]
	s_waitcnt vmcnt(6)
	v_add_f64 v[72:73], v[74:75], v[72:73]
	v_mul_f64 v[74:75], v[145:146], s[8:9]
	v_add_f64 v[54:55], v[94:95], v[54:55]
	v_add_f64 v[56:57], v[113:114], v[56:57]
	;; [unrolled: 1-line block ×3, first 2 shown]
	s_waitcnt vmcnt(4)
	v_add_f64 v[74:75], v[74:75], -v[76:77]
	v_mul_f64 v[76:77], v[155:156], s[2:3]
	v_mul_f64 v[155:156], v[105:106], s[20:21]
	v_add_f64 v[54:55], v[92:93], v[54:55]
	v_add_f64 v[56:57], v[111:112], v[56:57]
	v_add_f64 v[74:75], v[40:41], v[74:75]
	s_waitcnt vmcnt(2)
	v_add_f64 v[76:77], v[78:79], v[76:77]
	v_add_f64 v[155:156], v[155:156], -v[173:174]
	s_clause 0x3
	buffer_load_dword v173, off, s[56:59], 0 offset:552
	buffer_load_dword v174, off, s[56:59], 0 offset:556
	;; [unrolled: 1-line block ×4, first 2 shown]
	v_mul_f64 v[78:79], v[145:146], s[2:3]
	v_mul_f64 v[145:146], v[119:120], s[18:19]
	s_clause 0x1
	buffer_load_dword v177, off, s[56:59], 0 offset:528
	buffer_load_dword v178, off, s[56:59], 0 offset:532
	v_add_f64 v[54:55], v[90:91], v[54:55]
	v_add_f64 v[42:43], v[42:43], v[76:77]
	v_mul_f64 v[76:77], v[163:164], s[22:23]
	v_add_f64 v[58:59], v[155:156], v[58:59]
	s_waitcnt vmcnt(6)
	v_add_f64 v[78:79], v[78:79], -v[80:81]
	v_add_f64 v[145:146], v[145:146], -v[179:180]
	s_clause 0x1f
	buffer_load_dword v179, off, s[56:59], 0 offset:512
	buffer_load_dword v180, off, s[56:59], 0 offset:516
	;; [unrolled: 1-line block ×32, first 2 shown]
	v_mul_f64 v[80:81], v[125:126], s[16:17]
	v_add_f64 v[76:77], v[233:234], v[76:77]
	v_add_f64 v[58:59], v[149:150], v[58:59]
	;; [unrolled: 1-line block ×4, first 2 shown]
	v_mul_f64 v[78:79], v[135:136], s[2:3]
	v_add_f64 v[80:81], v[223:224], v[80:81]
	v_add_f64 v[58:59], v[145:146], v[58:59]
	;; [unrolled: 1-line block ×4, first 2 shown]
	v_mul_f64 v[80:81], v[143:144], s[14:15]
	v_add_f64 v[58:59], v[137:138], v[58:59]
	v_add_f64 v[52:53], v[78:79], v[52:53]
	v_mul_f64 v[78:79], v[139:140], s[14:15]
	v_add_f64 v[58:59], v[133:134], v[58:59]
	v_add_f64 v[52:53], v[76:77], v[52:53]
	;; [unrolled: 3-line block ×3, first 2 shown]
	v_mul_f64 v[56:57], v[139:140], s[10:11]
	s_waitcnt vmcnt(36)
	v_add_f64 v[171:172], v[171:172], -v[173:174]
	v_mul_f64 v[173:174], v[105:106], s[18:19]
	s_waitcnt vmcnt(34)
	v_add_f64 v[173:174], v[173:174], -v[175:176]
	v_mul_f64 v[175:176], v[135:136], s[10:11]
	v_add_f64 v[62:63], v[173:174], v[62:63]
	s_waitcnt vmcnt(32)
	v_add_f64 v[175:176], v[177:178], v[175:176]
	v_mul_f64 v[177:178], v[125:126], s[2:3]
	v_add_f64 v[62:63], v[171:172], v[62:63]
	s_waitcnt vmcnt(30)
	v_add_f64 v[177:178], v[179:180], v[177:178]
	;; [unrolled: 4-line block ×4, first 2 shown]
	v_mul_f64 v[183:184], v[131:132], s[10:11]
	v_add_f64 v[64:65], v[181:182], v[64:65]
	s_waitcnt vmcnt(24)
	v_add_f64 v[183:184], v[183:184], -v[185:186]
	v_mul_f64 v[185:186], v[119:120], s[2:3]
	v_add_f64 v[64:65], v[179:180], v[64:65]
	s_waitcnt vmcnt(22)
	v_add_f64 v[185:186], v[185:186], -v[187:188]
	;; [unrolled: 4-line block ×4, first 2 shown]
	v_mul_f64 v[191:192], v[135:136], s[8:9]
	v_add_f64 v[66:67], v[189:190], v[66:67]
	s_waitcnt vmcnt(16)
	v_add_f64 v[191:192], v[193:194], v[191:192]
	v_mul_f64 v[193:194], v[125:126], s[20:21]
	v_add_f64 v[66:67], v[187:188], v[66:67]
	s_waitcnt vmcnt(14)
	v_add_f64 v[193:194], v[195:196], v[193:194]
	;; [unrolled: 4-line block ×4, first 2 shown]
	v_mul_f64 v[199:200], v[119:120], s[20:21]
	v_add_f64 v[68:69], v[197:198], v[68:69]
	s_waitcnt vmcnt(8)
	v_add_f64 v[199:200], v[199:200], -v[201:202]
	v_mul_f64 v[201:202], v[105:106], s[16:17]
	v_add_f64 v[68:69], v[195:196], v[68:69]
	s_waitcnt vmcnt(6)
	v_add_f64 v[201:202], v[201:202], -v[203:204]
	v_mul_f64 v[203:204], v[115:116], s[16:17]
	v_mul_f64 v[115:116], v[115:116], s[10:11]
	v_add_f64 v[68:69], v[193:194], v[68:69]
	v_add_f64 v[70:71], v[201:202], v[70:71]
	s_waitcnt vmcnt(4)
	v_add_f64 v[203:204], v[205:206], v[203:204]
	v_mul_f64 v[205:206], v[107:108], s[14:15]
	v_mul_f64 v[107:108], v[107:108], s[8:9]
	v_add_f64 v[68:69], v[191:192], v[68:69]
	s_waitcnt vmcnt(2)
	v_add_f64 v[205:206], v[207:208], v[205:206]
	v_mul_f64 v[207:208], v[105:106], s[14:15]
	v_mul_f64 v[105:106], v[105:106], s[8:9]
	v_add_f64 v[72:73], v[205:206], v[72:73]
	s_waitcnt vmcnt(0)
	v_add_f64 v[207:208], v[207:208], -v[209:210]
	s_clause 0x1
	buffer_load_dword v209, off, s[56:59], 0 offset:16
	buffer_load_dword v210, off, s[56:59], 0 offset:20
	v_add_f64 v[72:73], v[203:204], v[72:73]
	v_add_f64 v[74:75], v[207:208], v[74:75]
	s_waitcnt vmcnt(0)
	v_add_f64 v[107:108], v[209:210], v[107:108]
	s_clause 0x3
	buffer_load_dword v209, off, s[56:59], 0 offset:8
	buffer_load_dword v210, off, s[56:59], 0 offset:12
	;; [unrolled: 1-line block ×4, first 2 shown]
	v_add_f64 v[42:43], v[107:108], v[42:43]
	s_waitcnt vmcnt(2)
	v_add_f64 v[105:106], v[105:106], -v[209:210]
	v_mul_f64 v[209:210], v[109:110], s[16:17]
	v_add_f64 v[40:41], v[105:106], v[40:41]
	s_waitcnt vmcnt(0)
	v_add_f64 v[209:210], v[209:210], -v[211:212]
	s_clause 0x3
	buffer_load_dword v211, off, s[56:59], 0 offset:40
	buffer_load_dword v212, off, s[56:59], 0 offset:44
	;; [unrolled: 1-line block ×4, first 2 shown]
	v_add_f64 v[74:75], v[209:210], v[74:75]
	s_waitcnt vmcnt(2)
	v_add_f64 v[115:116], v[211:212], v[115:116]
	v_mul_f64 v[211:212], v[109:110], s[10:11]
	v_mul_f64 v[109:110], v[109:110], s[22:23]
	v_add_f64 v[42:43], v[115:116], v[42:43]
	s_waitcnt vmcnt(0)
	v_add_f64 v[211:212], v[211:212], -v[213:214]
	s_clause 0x5
	buffer_load_dword v213, off, s[56:59], 0 offset:320
	buffer_load_dword v214, off, s[56:59], 0 offset:324
	;; [unrolled: 1-line block ×6, first 2 shown]
	v_add_f64 v[40:41], v[211:212], v[40:41]
	s_waitcnt vmcnt(4)
	v_add_f64 v[109:110], v[109:110], -v[213:214]
	v_mul_f64 v[213:214], v[125:126], s[22:23]
	v_mul_f64 v[125:126], v[125:126], s[14:15]
	v_add_f64 v[70:71], v[109:110], v[70:71]
	s_waitcnt vmcnt(2)
	v_add_f64 v[213:214], v[215:216], v[213:214]
	v_mul_f64 v[215:216], v[119:120], s[22:23]
	v_mul_f64 v[119:120], v[119:120], s[14:15]
	v_mul_f64 v[109:110], v[157:158], s[22:23]
	v_add_f64 v[70:71], v[199:200], v[70:71]
	v_add_f64 v[72:73], v[213:214], v[72:73]
	s_waitcnt vmcnt(0)
	v_add_f64 v[215:216], v[215:216], -v[217:218]
	s_clause 0x1
	buffer_load_dword v217, off, s[56:59], 0 offset:48
	buffer_load_dword v218, off, s[56:59], 0 offset:52
	v_add_f64 v[74:75], v[215:216], v[74:75]
	s_waitcnt vmcnt(0)
	v_add_f64 v[125:126], v[217:218], v[125:126]
	s_clause 0x7
	buffer_load_dword v217, off, s[56:59], 0 offset:24
	buffer_load_dword v218, off, s[56:59], 0 offset:28
	;; [unrolled: 1-line block ×8, first 2 shown]
	v_add_f64 v[42:43], v[125:126], v[42:43]
	s_waitcnt vmcnt(6)
	v_add_f64 v[119:120], v[119:120], -v[217:218]
	v_mul_f64 v[217:218], v[131:132], s[8:9]
	v_add_f64 v[40:41], v[119:120], v[40:41]
	s_waitcnt vmcnt(4)
	v_add_f64 v[217:218], v[217:218], -v[219:220]
	v_mul_f64 v[219:220], v[135:136], s[18:19]
	v_mul_f64 v[135:136], v[135:136], s[20:21]
	v_add_f64 v[70:71], v[217:218], v[70:71]
	s_waitcnt vmcnt(2)
	v_add_f64 v[219:220], v[221:222], v[219:220]
	v_mul_f64 v[221:222], v[131:132], s[18:19]
	v_mul_f64 v[131:132], v[131:132], s[20:21]
	v_add_f64 v[72:73], v[219:220], v[72:73]
	s_waitcnt vmcnt(0)
	v_add_f64 v[221:222], v[221:222], -v[223:224]
	s_clause 0x1
	buffer_load_dword v223, off, s[56:59], 0 offset:64
	buffer_load_dword v224, off, s[56:59], 0 offset:68
	v_add_f64 v[74:75], v[221:222], v[74:75]
	s_waitcnt vmcnt(0)
	v_add_f64 v[135:136], v[223:224], v[135:136]
	s_clause 0x11
	buffer_load_dword v223, off, s[56:59], 0 offset:56
	buffer_load_dword v224, off, s[56:59], 0 offset:60
	buffer_load_dword v225, off, s[56:59], 0 offset:520
	buffer_load_dword v226, off, s[56:59], 0 offset:524
	buffer_load_dword v227, off, s[56:59], 0 offset:504
	buffer_load_dword v228, off, s[56:59], 0 offset:508
	buffer_load_dword v229, off, s[56:59], 0 offset:416
	buffer_load_dword v230, off, s[56:59], 0 offset:420
	buffer_load_dword v231, off, s[56:59], 0 offset:400
	buffer_load_dword v232, off, s[56:59], 0 offset:404
	buffer_load_dword v233, off, s[56:59], 0 offset:304
	buffer_load_dword v234, off, s[56:59], 0 offset:308
	buffer_load_dword v235, off, s[56:59], 0 offset:296
	buffer_load_dword v236, off, s[56:59], 0 offset:300
	buffer_load_dword v237, off, s[56:59], 0 offset:192
	buffer_load_dword v238, off, s[56:59], 0 offset:196
	buffer_load_dword v239, off, s[56:59], 0 offset:184
	buffer_load_dword v240, off, s[56:59], 0 offset:188
	v_add_f64 v[42:43], v[135:136], v[42:43]
	s_waitcnt vmcnt(16)
	v_add_f64 v[131:132], v[131:132], -v[223:224]
	v_mul_f64 v[223:224], v[163:164], s[14:15]
	v_add_f64 v[40:41], v[131:132], v[40:41]
	s_waitcnt vmcnt(14)
	v_add_f64 v[223:224], v[225:226], v[223:224]
	v_mul_f64 v[225:226], v[151:152], s[14:15]
	v_add_f64 v[60:61], v[223:224], v[60:61]
	s_waitcnt vmcnt(12)
	v_add_f64 v[225:226], v[225:226], -v[227:228]
	v_mul_f64 v[227:228], v[163:164], s[18:19]
	v_add_f64 v[62:63], v[225:226], v[62:63]
	s_waitcnt vmcnt(10)
	v_add_f64 v[227:228], v[229:230], v[227:228]
	v_mul_f64 v[229:230], v[151:152], s[18:19]
	;; [unrolled: 8-line block ×3, first 2 shown]
	v_add_f64 v[68:69], v[231:232], v[68:69]
	s_waitcnt vmcnt(4)
	v_add_f64 v[233:234], v[233:234], -v[235:236]
	v_mul_f64 v[235:236], v[163:164], s[20:21]
	v_mul_f64 v[163:164], v[163:164], s[16:17]
	v_add_f64 v[70:71], v[233:234], v[70:71]
	s_waitcnt vmcnt(2)
	v_add_f64 v[235:236], v[237:238], v[235:236]
	v_mul_f64 v[237:238], v[151:152], s[20:21]
	v_mul_f64 v[151:152], v[151:152], s[16:17]
	v_add_f64 v[72:73], v[235:236], v[72:73]
	s_waitcnt vmcnt(0)
	v_add_f64 v[237:238], v[237:238], -v[239:240]
	s_clause 0x1
	buffer_load_dword v239, off, s[56:59], 0 offset:120
	buffer_load_dword v240, off, s[56:59], 0 offset:124
	v_add_f64 v[74:75], v[237:238], v[74:75]
	s_waitcnt vmcnt(0)
	v_add_f64 v[163:164], v[239:240], v[163:164]
	s_clause 0x11
	buffer_load_dword v239, off, s[56:59], 0 offset:96
	buffer_load_dword v240, off, s[56:59], 0 offset:100
	;; [unrolled: 1-line block ×18, first 2 shown]
	v_add_f64 v[42:43], v[163:164], v[42:43]
	s_waitcnt vmcnt(16)
	v_add_f64 v[151:152], v[151:152], -v[239:240]
	v_mul_f64 v[239:240], v[143:144], s[2:3]
	s_waitcnt vmcnt(10)
	v_add_f64 v[84:85], v[123:124], v[84:85]
	s_waitcnt vmcnt(8)
	v_add_f64 v[82:83], v[82:83], -v[98:99]
	s_waitcnt vmcnt(6)
	v_add_f64 v[80:81], v[96:97], v[80:81]
	s_waitcnt vmcnt(4)
	v_add_f64 v[78:79], v[78:79], -v[94:95]
	s_waitcnt vmcnt(2)
	v_add_f64 v[76:77], v[92:93], v[76:77]
	s_clause 0x9
	buffer_load_dword v92, off, s[56:59], 0 offset:80
	buffer_load_dword v93, off, s[56:59], 0 offset:84
	;; [unrolled: 1-line block ×10, first 2 shown]
	s_waitcnt vmcnt(10)
	v_add_f64 v[56:57], v[56:57], -v[90:91]
	v_mul_f64 v[90:91], v[143:144], s[18:19]
	v_add_f64 v[40:41], v[151:152], v[40:41]
	v_add_f64 v[239:240], v[241:242], v[239:240]
	v_mul_f64 v[241:242], v[139:140], s[2:3]
	v_add_f64 v[64:65], v[84:85], v[64:65]
	v_mul_f64 v[84:85], v[157:158], s[8:9]
	;; [unrolled: 2-line block ×4, first 2 shown]
	v_add_f64 v[70:71], v[78:79], v[70:71]
	v_add_f64 v[78:79], v[82:83], v[66:67]
	;; [unrolled: 1-line block ×3, first 2 shown]
	v_and_b32_e32 v36, 0xffff, v243
	v_add_f64 v[74:75], v[56:57], v[74:75]
	v_add_lshl_u32 v36, v142, v36, 4
	v_add_f64 v[60:61], v[239:240], v[60:61]
	v_add_f64 v[241:242], v[241:242], -v[244:245]
	v_add_f64 v[82:83], v[241:242], v[62:63]
	s_waitcnt vmcnt(8)
	v_add_f64 v[90:91], v[92:93], v[90:91]
	v_mul_f64 v[92:93], v[139:140], s[18:19]
	v_add_f64 v[42:43], v[90:91], v[42:43]
	s_waitcnt vmcnt(6)
	v_add_f64 v[92:93], v[92:93], -v[94:95]
	v_mul_f64 v[94:95], v[167:168], s[16:17]
	v_add_f64 v[92:93], v[92:93], v[40:41]
	s_waitcnt vmcnt(4)
	v_add_f64 v[94:95], v[96:97], v[94:95]
	v_mul_f64 v[96:97], v[157:158], s[16:17]
	v_add_f64 v[40:41], v[44:45], v[48:49]
	v_add_f64 v[44:45], v[100:101], v[52:53]
	;; [unrolled: 1-line block ×3, first 2 shown]
	s_waitcnt vmcnt(2)
	v_add_f64 v[96:97], v[96:97], -v[98:99]
	v_mul_f64 v[98:99], v[167:168], s[8:9]
	s_waitcnt vmcnt(0)
	v_add_f64 v[98:99], v[102:103], v[98:99]
	s_clause 0x3
	buffer_load_dword v102, off, s[56:59], 0 offset:224
	buffer_load_dword v103, off, s[56:59], 0 offset:228
	;; [unrolled: 1-line block ×4, first 2 shown]
	v_add_f64 v[52:53], v[98:99], v[64:65]
	s_waitcnt vmcnt(2)
	v_add_f64 v[84:85], v[84:85], -v[102:103]
	v_mul_f64 v[102:103], v[167:168], s[18:19]
	v_add_f64 v[50:51], v[84:85], v[78:79]
	s_waitcnt vmcnt(0)
	v_add_f64 v[102:103], v[105:106], v[102:103]
	s_clause 0x7
	buffer_load_dword v105, off, s[56:59], 0 offset:168
	buffer_load_dword v106, off, s[56:59], 0 offset:172
	;; [unrolled: 1-line block ×8, first 2 shown]
	v_add_f64 v[56:57], v[102:103], v[68:69]
	v_add_f64 v[68:69], v[38:39], v[46:47]
	;; [unrolled: 1-line block ×4, first 2 shown]
	s_waitcnt vmcnt(6)
	v_add_f64 v[80:81], v[80:81], -v[105:106]
	v_mul_f64 v[105:106], v[167:168], s[2:3]
	s_waitcnt vmcnt(0)
	v_add_f64 v[76:77], v[76:77], -v[90:91]
	s_clause 0x1
	buffer_load_dword v90, off, s[56:59], 0 offset:104
	buffer_load_dword v91, off, s[56:59], 0 offset:108
	v_add_f64 v[54:55], v[80:81], v[70:71]
	v_add_f64 v[105:106], v[107:108], v[105:106]
	v_mul_f64 v[107:108], v[167:168], s[22:23]
	v_add_f64 v[60:61], v[105:106], v[72:73]
	v_add_f64 v[107:108], v[111:112], v[107:108]
	;; [unrolled: 1-line block ×3, first 2 shown]
	s_waitcnt vmcnt(0)
	v_add_f64 v[90:91], v[109:110], -v[90:91]
	v_add_f64 v[109:110], v[129:130], v[58:59]
	v_add_f64 v[58:59], v[76:77], v[74:75]
	;; [unrolled: 1-line block ×4, first 2 shown]
	ds_write_b128 v36, v[66:69]
	ds_write_b128 v36, v[62:65] offset:16
	ds_write_b128 v36, v[58:61] offset:32
	;; [unrolled: 1-line block ×16, first 2 shown]
.LBB0_7:
	s_or_b32 exec_lo, exec_lo, s24
	v_mad_u64_u32 v[52:53], null, 0x70, v255, s[4:5]
	s_load_dwordx4 s[0:3], s[0:1], 0x0
	s_waitcnt lgkmcnt(0)
	s_barrier
	buffer_gl0_inv
	v_add_lshl_u32 v140, v142, v255, 4
	s_mov_b32 s4, 0x667f3bcd
	s_clause 0x6
	global_load_dwordx4 v[44:47], v[52:53], off
	global_load_dwordx4 v[40:43], v[52:53], off offset:16
	global_load_dwordx4 v[36:39], v[52:53], off offset:48
	;; [unrolled: 1-line block ×6, first 2 shown]
	ds_read_b128 v[64:67], v140 offset:272
	ds_read_b128 v[68:71], v140 offset:544
	;; [unrolled: 1-line block ×7, first 2 shown]
	ds_read_b128 v[92:95], v140
	s_mov_b32 s5, 0xbfe6a09e
	s_mov_b32 s9, 0x3fe6a09e
	;; [unrolled: 1-line block ×3, first 2 shown]
	s_waitcnt vmcnt(6) lgkmcnt(7)
	v_mul_f64 v[96:97], v[66:67], v[46:47]
	s_waitcnt vmcnt(5) lgkmcnt(6)
	v_mul_f64 v[100:101], v[70:71], v[42:43]
	v_mul_f64 v[102:103], v[68:69], v[42:43]
	s_waitcnt vmcnt(4) lgkmcnt(5)
	v_mul_f64 v[105:106], v[74:75], v[38:39]
	;; [unrolled: 3-line block ×4, first 2 shown]
	s_waitcnt vmcnt(1) lgkmcnt(2)
	v_mul_f64 v[117:118], v[86:87], v[58:59]
	v_mul_f64 v[119:120], v[84:85], v[58:59]
	s_waitcnt vmcnt(0) lgkmcnt(1)
	v_mul_f64 v[121:122], v[90:91], v[54:55]
	v_mul_f64 v[123:124], v[88:89], v[54:55]
	;; [unrolled: 1-line block ×4, first 2 shown]
	v_fma_f64 v[64:65], v[64:65], v[44:45], -v[96:97]
	v_fma_f64 v[68:69], v[68:69], v[40:41], -v[100:101]
	v_fma_f64 v[70:71], v[70:71], v[40:41], v[102:103]
	v_fma_f64 v[72:73], v[72:73], v[36:37], -v[105:106]
	v_fma_f64 v[74:75], v[74:75], v[36:37], v[107:108]
	;; [unrolled: 2-line block ×3, first 2 shown]
	v_fma_f64 v[80:81], v[80:81], v[60:61], -v[113:114]
	v_fma_f64 v[84:85], v[84:85], v[56:57], -v[117:118]
	v_fma_f64 v[86:87], v[86:87], v[56:57], v[119:120]
	v_fma_f64 v[88:89], v[88:89], v[52:53], -v[121:122]
	v_fma_f64 v[90:91], v[90:91], v[52:53], v[123:124]
	v_fma_f64 v[66:67], v[66:67], v[44:45], v[98:99]
	v_fma_f64 v[82:83], v[82:83], v[60:61], v[115:116]
	s_waitcnt lgkmcnt(0)
	v_add_f64 v[72:73], v[92:93], -v[72:73]
	v_add_f64 v[74:75], v[94:95], -v[74:75]
	;; [unrolled: 1-line block ×8, first 2 shown]
	v_fma_f64 v[92:93], v[92:93], 2.0, -v[72:73]
	v_fma_f64 v[94:95], v[94:95], 2.0, -v[74:75]
	;; [unrolled: 1-line block ×5, first 2 shown]
	v_add_f64 v[96:97], v[72:73], -v[78:79]
	v_add_f64 v[98:99], v[74:75], v[76:77]
	v_fma_f64 v[76:77], v[84:85], 2.0, -v[88:89]
	v_add_f64 v[84:85], v[80:81], -v[90:91]
	v_fma_f64 v[78:79], v[86:87], 2.0, -v[90:91]
	v_fma_f64 v[66:67], v[66:67], 2.0, -v[82:83]
	v_add_f64 v[86:87], v[82:83], v[88:89]
	v_add_f64 v[88:89], v[92:93], -v[68:69]
	v_add_f64 v[90:91], v[94:95], -v[70:71]
	v_fma_f64 v[100:101], v[72:73], 2.0, -v[96:97]
	v_fma_f64 v[102:103], v[74:75], 2.0, -v[98:99]
	v_add_f64 v[70:71], v[64:65], -v[76:77]
	v_fma_f64 v[76:77], v[84:85], s[8:9], v[96:97]
	v_fma_f64 v[74:75], v[80:81], 2.0, -v[84:85]
	v_add_f64 v[68:69], v[66:67], -v[78:79]
	v_fma_f64 v[78:79], v[86:87], s[8:9], v[98:99]
	v_fma_f64 v[72:73], v[82:83], 2.0, -v[86:87]
	v_fma_f64 v[92:93], v[92:93], 2.0, -v[88:89]
	;; [unrolled: 1-line block ×4, first 2 shown]
	v_fma_f64 v[76:77], v[86:87], s[4:5], v[76:77]
	v_fma_f64 v[105:106], v[74:75], s[4:5], v[100:101]
	v_fma_f64 v[66:67], v[66:67], 2.0, -v[68:69]
	v_fma_f64 v[78:79], v[84:85], s[8:9], v[78:79]
	v_fma_f64 v[107:108], v[72:73], s[4:5], v[102:103]
	v_add_f64 v[68:69], v[88:89], -v[68:69]
	v_add_f64 v[70:71], v[90:91], v[70:71]
	v_add_f64 v[80:81], v[92:93], -v[64:65]
	v_fma_f64 v[84:85], v[96:97], 2.0, -v[76:77]
	buffer_load_dword v96, off, s[56:59], 0 offset:4 ; 4-byte Folded Reload
	v_add_f64 v[82:83], v[94:95], -v[66:67]
	v_fma_f64 v[72:73], v[72:73], s[4:5], v[105:106]
	v_fma_f64 v[74:75], v[74:75], s[8:9], v[107:108]
	v_fma_f64 v[88:89], v[88:89], 2.0, -v[68:69]
	v_fma_f64 v[90:91], v[90:91], 2.0, -v[70:71]
	;; [unrolled: 1-line block ×7, first 2 shown]
	s_waitcnt vmcnt(0)
	v_lshl_add_u32 v139, v255, 4, v96
	ds_write_b128 v139, v[68:71] offset:1632
	ds_write_b128 v139, v[76:79] offset:1904
	;; [unrolled: 1-line block ×6, first 2 shown]
	ds_write_b128 v139, v[64:67]
	ds_write_b128 v139, v[92:95] offset:272
	s_waitcnt lgkmcnt(0)
	s_barrier
	buffer_gl0_inv
	s_and_saveexec_b32 s8, vcc_lo
	s_cbranch_execz .LBB0_9
; %bb.8:
	v_or_b32_e32 v137, 0x800, v141
	s_add_u32 s4, s6, 0x880
	s_addc_u32 s5, s7, 0
	s_clause 0x10
	global_load_dwordx4 v[105:108], v141, s[4:5]
	global_load_dwordx4 v[96:99], v141, s[4:5] offset:128
	global_load_dwordx4 v[100:103], v141, s[4:5] offset:256
	;; [unrolled: 1-line block ×15, first 2 shown]
	global_load_dwordx4 v[166:169], v137, s[4:5]
	buffer_load_dword v174, off, s[56:59], 0 ; 4-byte Folded Reload
	s_waitcnt vmcnt(0)
	ds_read_b128 v[170:173], v174
	s_waitcnt lgkmcnt(0)
	v_mul_f64 v[137:138], v[172:173], v[107:108]
	v_mul_f64 v[107:108], v[170:171], v[107:108]
	v_fma_f64 v[170:171], v[170:171], v[105:106], -v[137:138]
	v_fma_f64 v[172:173], v[172:173], v[105:106], v[107:108]
	ds_write_b128 v174, v[170:173]
	ds_read_b128 v[105:108], v139 offset:128
	ds_read_b128 v[170:173], v139 offset:256
	;; [unrolled: 1-line block ×8, first 2 shown]
	s_waitcnt lgkmcnt(7)
	v_mul_f64 v[137:138], v[107:108], v[98:99]
	v_mul_f64 v[98:99], v[105:106], v[98:99]
	s_waitcnt lgkmcnt(6)
	v_mul_f64 v[198:199], v[172:173], v[102:103]
	v_mul_f64 v[102:103], v[170:171], v[102:103]
	;; [unrolled: 3-line block ×8, first 2 shown]
	v_fma_f64 v[105:106], v[105:106], v[96:97], -v[137:138]
	v_fma_f64 v[107:108], v[107:108], v[96:97], v[98:99]
	ds_read_b128 v[96:99], v139 offset:1152
	v_fma_f64 v[170:171], v[170:171], v[100:101], -v[198:199]
	v_fma_f64 v[172:173], v[172:173], v[100:101], v[102:103]
	ds_read_b128 v[100:103], v139 offset:1280
	;; [unrolled: 3-line block ×3, first 2 shown]
	ds_read_b128 v[198:201], v139 offset:1536
	v_fma_f64 v[178:179], v[178:179], v[113:114], -v[202:203]
	v_fma_f64 v[180:181], v[180:181], v[113:114], v[115:116]
	v_fma_f64 v[113:114], v[182:183], v[117:118], -v[204:205]
	v_fma_f64 v[115:116], v[184:185], v[117:118], v[119:120]
	ds_read_b128 v[117:120], v139 offset:1664
	ds_read_b128 v[182:185], v139 offset:1792
	v_fma_f64 v[137:138], v[188:189], v[121:122], v[123:124]
	v_fma_f64 v[190:191], v[190:191], v[125:126], -v[208:209]
	v_fma_f64 v[192:193], v[192:193], v[125:126], v[127:128]
	v_fma_f64 v[127:128], v[196:197], v[129:130], v[131:132]
	v_fma_f64 v[125:126], v[194:195], v[129:130], -v[210:211]
	s_waitcnt lgkmcnt(5)
	v_mul_f64 v[202:203], v[98:99], v[135:136]
	v_mul_f64 v[204:205], v[96:97], v[135:136]
	v_fma_f64 v[135:136], v[186:187], v[121:122], -v[206:207]
	ds_read_b128 v[121:124], v139 offset:1920
	ds_read_b128 v[186:189], v139 offset:2048
	s_waitcnt lgkmcnt(6)
	v_mul_f64 v[206:207], v[102:103], v[144:145]
	v_mul_f64 v[144:145], v[100:101], v[144:145]
	s_waitcnt lgkmcnt(5)
	v_mul_f64 v[208:209], v[111:112], v[148:149]
	v_mul_f64 v[148:149], v[109:110], v[148:149]
	;; [unrolled: 3-line block ×4, first 2 shown]
	s_waitcnt lgkmcnt(2)
	v_mul_f64 v[194:195], v[184:185], v[160:161]
	v_fma_f64 v[96:97], v[96:97], v[133:134], -v[202:203]
	v_fma_f64 v[98:99], v[98:99], v[133:134], v[204:205]
	v_mul_f64 v[133:134], v[182:183], v[160:161]
	s_waitcnt lgkmcnt(1)
	v_mul_f64 v[160:161], v[123:124], v[164:165]
	v_mul_f64 v[164:165], v[121:122], v[164:165]
	s_waitcnt lgkmcnt(0)
	v_mul_f64 v[196:197], v[188:189], v[168:169]
	v_mul_f64 v[168:169], v[186:187], v[168:169]
	v_fma_f64 v[100:101], v[100:101], v[142:143], -v[206:207]
	v_fma_f64 v[102:103], v[102:103], v[142:143], v[144:145]
	v_fma_f64 v[109:110], v[109:110], v[146:147], -v[208:209]
	v_fma_f64 v[111:112], v[111:112], v[146:147], v[148:149]
	;; [unrolled: 2-line block ×7, first 2 shown]
	ds_write_b128 v139, v[105:108] offset:128
	ds_write_b128 v139, v[170:173] offset:256
	ds_write_b128 v139, v[174:177] offset:384
	ds_write_b128 v139, v[178:181] offset:512
	ds_write_b128 v139, v[113:116] offset:640
	ds_write_b128 v139, v[135:138] offset:768
	ds_write_b128 v139, v[190:193] offset:896
	ds_write_b128 v139, v[125:128] offset:1024
	ds_write_b128 v139, v[96:99] offset:1152
	ds_write_b128 v139, v[100:103] offset:1280
	ds_write_b128 v139, v[109:112] offset:1408
	ds_write_b128 v139, v[129:132] offset:1536
	ds_write_b128 v139, v[117:120] offset:1664
	ds_write_b128 v139, v[142:145] offset:1792
	ds_write_b128 v139, v[121:124] offset:1920
	ds_write_b128 v139, v[146:149] offset:2048
.LBB0_9:
	s_or_b32 exec_lo, exec_lo, s8
	s_waitcnt lgkmcnt(0)
	s_barrier
	buffer_gl0_inv
	s_and_saveexec_b32 s4, vcc_lo
	s_cbranch_execz .LBB0_11
; %bb.10:
	buffer_load_dword v0, off, s[56:59], 0  ; 4-byte Folded Reload
	s_waitcnt vmcnt(0)
	ds_read_b128 v[64:67], v0
	ds_read_b128 v[92:95], v139 offset:128
	ds_read_b128 v[88:91], v139 offset:256
	;; [unrolled: 1-line block ×16, first 2 shown]
.LBB0_11:
	s_or_b32 exec_lo, exec_lo, s4
	s_waitcnt lgkmcnt(0)
	s_barrier
	buffer_gl0_inv
	s_and_saveexec_b32 s33, vcc_lo
	s_cbranch_execz .LBB0_13
; %bb.12:
	v_add_f64 v[96:97], v[66:67], v[94:95]
	v_add_f64 v[98:99], v[64:65], v[92:93]
	v_add_f64 v[131:132], v[92:93], -v[0:1]
	v_add_f64 v[133:134], v[94:95], -v[2:3]
	s_mov_b32 s8, 0xacd6c6b4
	s_mov_b32 s9, 0xbfc7851a
	v_add_f64 v[105:106], v[88:89], -v[4:5]
	v_add_f64 v[135:136], v[2:3], v[94:95]
	v_add_f64 v[102:103], v[90:91], -v[6:7]
	v_add_f64 v[137:138], v[0:1], v[92:93]
	s_mov_b32 s10, 0x5d8e7cdc
	s_mov_b32 s4, 0x7faef3
	;; [unrolled: 1-line block ×4, first 2 shown]
	v_add_f64 v[107:108], v[84:85], -v[8:9]
	v_add_f64 v[111:112], v[90:91], v[6:7]
	v_add_f64 v[109:110], v[88:89], v[4:5]
	s_mov_b32 s16, 0x4363dd80
	s_mov_b32 s14, 0x370991
	;; [unrolled: 1-line block ×4, first 2 shown]
	v_add_f64 v[94:95], v[32:33], -v[28:29]
	v_add_f64 v[96:97], v[90:91], v[96:97]
	v_add_f64 v[98:99], v[88:89], v[98:99]
	v_mul_f64 v[113:114], v[131:132], s[8:9]
	v_mul_f64 v[119:120], v[133:134], s[8:9]
	v_add_f64 v[90:91], v[86:87], -v[10:11]
	v_add_f64 v[92:93], v[34:35], v[30:31]
	v_mul_f64 v[123:124], v[105:106], s[10:11]
	v_add_f64 v[115:116], v[80:81], -v[12:13]
	v_mul_f64 v[142:143], v[102:103], s[10:11]
	v_add_f64 v[127:128], v[10:11], v[86:87]
	v_add_f64 v[125:126], v[8:9], v[84:85]
	s_mov_b32 s22, 0x2a9d6da3
	s_mov_b32 s23, 0x3fe58eea
	;; [unrolled: 1-line block ×6, first 2 shown]
	v_add_f64 v[88:89], v[74:75], v[18:19]
	s_mov_b32 s24, 0x6ed5f1bb
	s_mov_b32 s30, 0x7c9e640b
	;; [unrolled: 1-line block ×4, first 2 shown]
	v_add_f64 v[96:97], v[86:87], v[96:97]
	v_add_f64 v[98:99], v[84:85], v[98:99]
	v_fma_f64 v[129:130], v[135:136], s[4:5], v[113:114]
	v_fma_f64 v[144:145], v[137:138], s[4:5], -v[119:120]
	v_fma_f64 v[146:147], v[135:136], s[4:5], -v[113:114]
	v_add_f64 v[113:114], v[82:83], -v[14:15]
	v_add_f64 v[84:85], v[32:33], v[28:29]
	v_add_f64 v[86:87], v[34:35], -v[30:31]
	v_fma_f64 v[152:153], v[137:138], s[4:5], v[119:120]
	v_fma_f64 v[154:155], v[111:112], s[14:15], v[123:124]
	v_fma_f64 v[158:159], v[109:110], s[14:15], -v[142:143]
	v_fma_f64 v[160:161], v[111:112], s[14:15], -v[123:124]
	v_add_f64 v[123:124], v[72:73], v[16:17]
	v_add_f64 v[119:120], v[70:71], -v[22:23]
	s_mov_b32 s38, 0x923c349f
	s_mov_b32 s28, 0x2b2883cd
	;; [unrolled: 1-line block ×8, first 2 shown]
	v_add_f64 v[96:97], v[82:83], v[96:97]
	v_add_f64 v[98:99], v[80:81], v[98:99]
	;; [unrolled: 1-line block ×5, first 2 shown]
	v_add_f64 v[129:130], v[74:75], -v[18:19]
	s_mov_b32 s34, 0x3259b75e
	s_mov_b32 s35, 0x3fb79ee6
	;; [unrolled: 1-line block ×15, first 2 shown]
	v_add_f64 v[96:97], v[74:75], v[96:97]
	v_add_f64 v[98:99], v[72:73], v[98:99]
	;; [unrolled: 1-line block ×7, first 2 shown]
	v_add_f64 v[96:97], v[76:77], -v[24:25]
	v_add_f64 v[117:118], v[78:79], v[100:101]
	v_add_f64 v[121:122], v[76:77], v[98:99]
	v_add_f64 v[98:99], v[68:69], -v[20:21]
	v_add_f64 v[100:101], v[72:73], -v[16:17]
	v_add_f64 v[72:73], v[76:77], v[24:25]
	v_add_f64 v[76:77], v[64:65], v[152:153]
	v_mul_f64 v[152:153], v[113:114], s[22:23]
	v_add_f64 v[78:79], v[78:79], -v[26:27]
	v_add_f64 v[148:149], v[34:35], v[117:118]
	v_add_f64 v[150:151], v[32:33], v[121:122]
	v_mul_f64 v[32:33], v[107:108], s[16:17]
	v_mul_f64 v[34:35], v[90:91], s[16:17]
	v_add_f64 v[121:122], v[14:15], v[82:83]
	v_add_f64 v[117:118], v[12:13], v[80:81]
	;; [unrolled: 1-line block ×4, first 2 shown]
	v_mul_f64 v[68:69], v[115:116], s[22:23]
	v_fma_f64 v[70:71], v[109:110], s[14:15], v[142:143]
	v_add_f64 v[142:143], v[154:155], v[156:157]
	v_add_f64 v[30:31], v[30:31], v[148:149]
	v_add_f64 v[28:29], v[28:29], v[150:151]
	v_fma_f64 v[148:149], v[127:128], s[18:19], v[32:33]
	v_fma_f64 v[150:151], v[125:126], s[18:19], -v[34:35]
	v_fma_f64 v[32:33], v[127:128], s[18:19], -v[32:33]
	v_fma_f64 v[34:35], v[125:126], s[18:19], v[34:35]
	v_add_f64 v[70:71], v[70:71], v[76:77]
	v_mul_f64 v[76:77], v[100:101], s[26:27]
	v_add_f64 v[154:155], v[26:27], v[30:31]
	v_add_f64 v[156:157], v[24:25], v[28:29]
	;; [unrolled: 1-line block ×3, first 2 shown]
	v_fma_f64 v[148:149], v[121:122], s[20:21], v[68:69]
	v_add_f64 v[144:145], v[150:151], v[144:145]
	v_fma_f64 v[150:151], v[117:118], s[20:21], -v[152:153]
	v_add_f64 v[32:33], v[32:33], v[146:147]
	v_mul_f64 v[146:147], v[129:130], s[26:27]
	v_fma_f64 v[68:69], v[121:122], s[20:21], -v[68:69]
	v_fma_f64 v[152:153], v[117:118], s[20:21], v[152:153]
	v_add_f64 v[34:35], v[34:35], v[70:71]
	v_mul_f64 v[70:71], v[98:99], s[30:31]
	v_add_f64 v[22:23], v[22:23], v[154:155]
	v_add_f64 v[20:21], v[20:21], v[156:157]
	;; [unrolled: 1-line block ×3, first 2 shown]
	v_fma_f64 v[148:149], v[88:89], s[24:25], v[76:77]
	v_add_f64 v[144:145], v[150:151], v[144:145]
	v_fma_f64 v[76:77], v[88:89], s[24:25], -v[76:77]
	v_fma_f64 v[150:151], v[123:124], s[24:25], -v[146:147]
	v_add_f64 v[32:33], v[68:69], v[32:33]
	v_mul_f64 v[68:69], v[119:120], s[30:31]
	v_fma_f64 v[146:147], v[123:124], s[24:25], v[146:147]
	v_add_f64 v[34:35], v[152:153], v[34:35]
	v_mul_f64 v[152:153], v[96:97], s[38:39]
	v_add_f64 v[18:19], v[18:19], v[22:23]
	v_add_f64 v[16:17], v[16:17], v[20:21]
	;; [unrolled: 1-line block ×3, first 2 shown]
	v_fma_f64 v[148:149], v[82:83], s[28:29], v[70:71]
	v_fma_f64 v[70:71], v[82:83], s[28:29], -v[70:71]
	v_add_f64 v[144:145], v[150:151], v[144:145]
	v_add_f64 v[32:33], v[76:77], v[32:33]
	v_fma_f64 v[150:151], v[80:81], s[28:29], -v[68:69]
	v_mul_f64 v[76:77], v[78:79], s[38:39]
	v_fma_f64 v[68:69], v[80:81], s[28:29], v[68:69]
	v_add_f64 v[34:35], v[146:147], v[34:35]
	v_mul_f64 v[146:147], v[94:95], s[42:43]
	v_add_f64 v[142:143], v[148:149], v[142:143]
	v_mul_f64 v[148:149], v[86:87], s[42:43]
	v_add_f64 v[32:33], v[70:71], v[32:33]
	v_add_f64 v[144:145], v[150:151], v[144:145]
	v_fma_f64 v[70:71], v[72:73], s[36:37], -v[76:77]
	v_fma_f64 v[150:151], v[74:75], s[36:37], v[152:153]
	v_add_f64 v[34:35], v[68:69], v[34:35]
	v_mul_f64 v[68:69], v[131:132], s[16:17]
	v_fma_f64 v[152:153], v[74:75], s[36:37], -v[152:153]
	v_fma_f64 v[76:77], v[72:73], s[36:37], v[76:77]
	v_fma_f64 v[24:25], v[92:93], s[34:35], v[146:147]
	v_fma_f64 v[146:147], v[92:93], s[34:35], -v[146:147]
	v_fma_f64 v[28:29], v[84:85], s[34:35], -v[148:149]
	v_fma_f64 v[148:149], v[84:85], s[34:35], v[148:149]
	v_add_f64 v[30:31], v[70:71], v[144:145]
	v_mul_f64 v[70:71], v[133:134], s[16:17]
	v_add_f64 v[26:27], v[150:151], v[142:143]
	v_mul_f64 v[142:143], v[105:106], s[30:31]
	;; [unrolled: 2-line block ×3, first 2 shown]
	v_add_f64 v[34:35], v[76:77], v[34:35]
	v_fma_f64 v[76:77], v[135:136], s[18:19], v[68:69]
	v_fma_f64 v[68:69], v[135:136], s[18:19], -v[68:69]
	v_fma_f64 v[150:151], v[137:138], s[18:19], -v[70:71]
	v_add_f64 v[26:27], v[24:25], v[26:27]
	v_add_f64 v[24:25], v[28:29], v[30:31]
	v_fma_f64 v[152:153], v[111:112], s[28:29], v[142:143]
	v_fma_f64 v[70:71], v[137:138], s[18:19], v[70:71]
	v_add_f64 v[30:31], v[146:147], v[32:33]
	v_add_f64 v[76:77], v[66:67], v[76:77]
	;; [unrolled: 1-line block ×3, first 2 shown]
	v_fma_f64 v[32:33], v[109:110], s[28:29], -v[144:145]
	v_mul_f64 v[146:147], v[107:108], s[40:41]
	v_fma_f64 v[142:143], v[111:112], s[28:29], -v[142:143]
	v_fma_f64 v[144:145], v[109:110], s[28:29], v[144:145]
	v_add_f64 v[68:69], v[66:67], v[68:69]
	v_mul_f64 v[148:149], v[90:91], s[40:41]
	v_add_f64 v[34:35], v[64:65], v[150:151]
	v_add_f64 v[70:71], v[64:65], v[70:71]
	v_add_f64 v[76:77], v[152:153], v[76:77]
	v_mul_f64 v[152:153], v[107:108], s[44:45]
	v_add_f64 v[68:69], v[142:143], v[68:69]
	v_mul_f64 v[142:143], v[115:116], s[46:47]
	v_add_f64 v[32:33], v[32:33], v[34:35]
	v_fma_f64 v[34:35], v[127:128], s[34:35], v[146:147]
	v_fma_f64 v[146:147], v[127:128], s[34:35], -v[146:147]
	v_add_f64 v[70:71], v[144:145], v[70:71]
	v_fma_f64 v[144:145], v[125:126], s[34:35], -v[148:149]
	v_fma_f64 v[148:149], v[125:126], s[34:35], v[148:149]
	v_add_f64 v[34:35], v[34:35], v[76:77]
	v_mul_f64 v[76:77], v[113:114], s[46:47]
	v_add_f64 v[68:69], v[146:147], v[68:69]
	v_add_f64 v[32:33], v[144:145], v[32:33]
	v_fma_f64 v[144:145], v[121:122], s[24:25], v[142:143]
	v_add_f64 v[70:71], v[148:149], v[70:71]
	v_mul_f64 v[148:149], v[100:101], s[44:45]
	v_fma_f64 v[142:143], v[121:122], s[24:25], -v[142:143]
	v_fma_f64 v[146:147], v[117:118], s[24:25], -v[76:77]
	v_fma_f64 v[76:77], v[117:118], s[24:25], v[76:77]
	v_add_f64 v[34:35], v[144:145], v[34:35]
	v_mul_f64 v[144:145], v[129:130], s[44:45]
	v_add_f64 v[68:69], v[142:143], v[68:69]
	v_add_f64 v[32:33], v[146:147], v[32:33]
	v_fma_f64 v[146:147], v[88:89], s[14:15], v[148:149]
	v_fma_f64 v[148:149], v[88:89], s[14:15], -v[148:149]
	v_add_f64 v[70:71], v[76:77], v[70:71]
	v_mul_f64 v[76:77], v[96:97], s[22:23]
	v_fma_f64 v[142:143], v[123:124], s[14:15], -v[144:145]
	v_fma_f64 v[144:145], v[123:124], s[14:15], v[144:145]
	v_add_f64 v[34:35], v[146:147], v[34:35]
	v_mul_f64 v[146:147], v[98:99], s[8:9]
	v_add_f64 v[68:69], v[148:149], v[68:69]
	v_fma_f64 v[148:149], v[74:75], s[20:21], v[76:77]
	v_add_f64 v[32:33], v[142:143], v[32:33]
	v_add_f64 v[70:71], v[144:145], v[70:71]
	v_mul_f64 v[144:145], v[78:79], s[22:23]
	v_fma_f64 v[76:77], v[74:75], s[20:21], -v[76:77]
	v_fma_f64 v[142:143], v[82:83], s[4:5], v[146:147]
	v_fma_f64 v[146:147], v[82:83], s[4:5], -v[146:147]
	v_add_f64 v[34:35], v[142:143], v[34:35]
	v_mul_f64 v[142:143], v[119:120], s[8:9]
	v_add_f64 v[68:69], v[146:147], v[68:69]
	v_mul_f64 v[146:147], v[94:95], s[38:39]
	v_add_f64 v[34:35], v[148:149], v[34:35]
	v_fma_f64 v[150:151], v[80:81], s[4:5], -v[142:143]
	v_fma_f64 v[142:143], v[80:81], s[4:5], v[142:143]
	v_fma_f64 v[148:149], v[72:73], s[20:21], -v[144:145]
	v_fma_f64 v[144:145], v[72:73], s[20:21], v[144:145]
	v_add_f64 v[68:69], v[76:77], v[68:69]
	v_add_f64 v[32:33], v[150:151], v[32:33]
	;; [unrolled: 1-line block ×3, first 2 shown]
	v_mul_f64 v[142:143], v[86:87], s[38:39]
	v_mul_f64 v[150:151], v[102:103], s[48:49]
	v_add_f64 v[32:33], v[148:149], v[32:33]
	v_fma_f64 v[148:149], v[92:93], s[36:37], v[146:147]
	v_fma_f64 v[76:77], v[84:85], s[36:37], -v[142:143]
	v_add_f64 v[144:145], v[144:145], v[70:71]
	v_fma_f64 v[70:71], v[92:93], s[36:37], -v[146:147]
	v_fma_f64 v[142:143], v[84:85], s[36:37], v[142:143]
	v_mul_f64 v[146:147], v[133:134], s[26:27]
	v_add_f64 v[34:35], v[148:149], v[34:35]
	v_add_f64 v[32:33], v[76:77], v[32:33]
	v_mul_f64 v[76:77], v[131:132], s[26:27]
	v_add_f64 v[70:71], v[70:71], v[68:69]
	v_add_f64 v[68:69], v[142:143], v[144:145]
	v_mul_f64 v[142:143], v[105:106], s[48:49]
	v_fma_f64 v[148:149], v[137:138], s[24:25], -v[146:147]
	v_fma_f64 v[144:145], v[135:136], s[24:25], v[76:77]
	v_fma_f64 v[76:77], v[135:136], s[24:25], -v[76:77]
	v_fma_f64 v[20:21], v[111:112], s[36:37], v[142:143]
	v_fma_f64 v[142:143], v[111:112], s[36:37], -v[142:143]
	v_add_f64 v[22:23], v[66:67], v[144:145]
	v_add_f64 v[144:145], v[64:65], v[148:149]
	v_fma_f64 v[148:149], v[109:110], s[36:37], -v[150:151]
	v_add_f64 v[76:77], v[66:67], v[76:77]
	v_add_f64 v[20:21], v[20:21], v[22:23]
	;; [unrolled: 1-line block ×3, first 2 shown]
	v_fma_f64 v[144:145], v[127:128], s[14:15], v[152:153]
	v_mul_f64 v[148:149], v[90:91], s[44:45]
	v_add_f64 v[76:77], v[142:143], v[76:77]
	v_fma_f64 v[142:143], v[137:138], s[24:25], v[146:147]
	v_fma_f64 v[146:147], v[109:110], s[36:37], v[150:151]
	v_add_f64 v[20:21], v[144:145], v[20:21]
	v_fma_f64 v[144:145], v[125:126], s[14:15], -v[148:149]
	v_add_f64 v[142:143], v[64:65], v[142:143]
	v_add_f64 v[22:23], v[144:145], v[22:23]
	v_mul_f64 v[144:145], v[115:116], s[16:17]
	v_add_f64 v[142:143], v[146:147], v[142:143]
	v_fma_f64 v[146:147], v[127:128], s[14:15], -v[152:153]
	v_fma_f64 v[154:155], v[121:122], s[18:19], v[144:145]
	v_fma_f64 v[144:145], v[121:122], s[18:19], -v[144:145]
	v_add_f64 v[76:77], v[146:147], v[76:77]
	v_fma_f64 v[146:147], v[125:126], s[14:15], v[148:149]
	v_add_f64 v[20:21], v[154:155], v[20:21]
	v_mul_f64 v[154:155], v[113:114], s[16:17]
	v_add_f64 v[76:77], v[144:145], v[76:77]
	v_add_f64 v[142:143], v[146:147], v[142:143]
	v_mul_f64 v[146:147], v[96:97], s[8:9]
	v_fma_f64 v[156:157], v[117:118], s[18:19], -v[154:155]
	v_fma_f64 v[144:145], v[117:118], s[18:19], v[154:155]
	v_add_f64 v[154:155], v[14:15], v[18:19]
	v_add_f64 v[22:23], v[156:157], v[22:23]
	v_mul_f64 v[156:157], v[100:101], s[42:43]
	v_add_f64 v[142:143], v[144:145], v[142:143]
	v_add_f64 v[10:11], v[10:11], v[154:155]
	v_mul_f64 v[154:155], v[133:134], s[40:41]
	v_fma_f64 v[158:159], v[88:89], s[34:35], v[156:157]
	v_fma_f64 v[144:145], v[88:89], s[34:35], -v[156:157]
	v_mul_f64 v[156:157], v[131:132], s[40:41]
	v_add_f64 v[6:7], v[6:7], v[10:11]
	v_add_f64 v[20:21], v[158:159], v[20:21]
	v_mul_f64 v[158:159], v[129:130], s[42:43]
	v_add_f64 v[76:77], v[144:145], v[76:77]
	v_fma_f64 v[144:145], v[74:75], s[4:5], v[146:147]
	v_fma_f64 v[146:147], v[74:75], s[4:5], -v[146:147]
	v_fma_f64 v[160:161], v[123:124], s[34:35], -v[158:159]
	v_fma_f64 v[148:149], v[123:124], s[34:35], v[158:159]
	v_mul_f64 v[158:159], v[133:134], s[50:51]
	v_add_f64 v[22:23], v[160:161], v[22:23]
	v_mul_f64 v[160:161], v[98:99], s[50:51]
	v_add_f64 v[142:143], v[148:149], v[142:143]
	v_mul_f64 v[148:149], v[78:79], s[8:9]
	v_fma_f64 v[166:167], v[137:138], s[20:21], v[158:159]
	v_fma_f64 v[158:159], v[137:138], s[20:21], -v[158:159]
	v_fma_f64 v[162:163], v[82:83], s[20:21], v[160:161]
	v_fma_f64 v[150:151], v[82:83], s[20:21], -v[160:161]
	v_add_f64 v[166:167], v[64:65], v[166:167]
	v_add_f64 v[158:159], v[64:65], v[158:159]
	;; [unrolled: 1-line block ×3, first 2 shown]
	v_mul_f64 v[162:163], v[119:120], s[50:51]
	v_add_f64 v[76:77], v[150:151], v[76:77]
	v_mul_f64 v[150:151], v[94:95], s[30:31]
	v_add_f64 v[20:21], v[144:145], v[20:21]
	v_fma_f64 v[164:165], v[80:81], s[20:21], -v[162:163]
	v_fma_f64 v[152:153], v[80:81], s[20:21], v[162:163]
	v_fma_f64 v[144:145], v[72:73], s[4:5], -v[148:149]
	v_fma_f64 v[148:149], v[72:73], s[4:5], v[148:149]
	v_add_f64 v[76:77], v[146:147], v[76:77]
	v_fma_f64 v[18:19], v[92:93], s[28:29], -v[150:151]
	v_fma_f64 v[162:163], v[137:138], s[34:35], -v[154:155]
	v_fma_f64 v[154:155], v[137:138], s[34:35], v[154:155]
	v_add_f64 v[22:23], v[164:165], v[22:23]
	v_add_f64 v[142:143], v[152:153], v[142:143]
	v_mul_f64 v[152:153], v[86:87], s[30:31]
	v_add_f64 v[18:19], v[18:19], v[76:77]
	v_add_f64 v[154:155], v[64:65], v[154:155]
	;; [unrolled: 1-line block ×3, first 2 shown]
	v_fma_f64 v[144:145], v[92:93], s[28:29], v[150:151]
	v_fma_f64 v[146:147], v[84:85], s[28:29], -v[152:153]
	v_fma_f64 v[150:151], v[84:85], s[28:29], v[152:153]
	v_add_f64 v[142:143], v[148:149], v[142:143]
	v_add_f64 v[148:149], v[12:13], v[16:17]
	v_mul_f64 v[152:153], v[131:132], s[38:39]
	v_add_f64 v[14:15], v[144:145], v[20:21]
	v_mul_f64 v[20:21], v[131:132], s[52:53]
	;; [unrolled: 2-line block ×3, first 2 shown]
	v_mul_f64 v[131:132], v[131:132], s[44:45]
	v_add_f64 v[16:17], v[150:151], v[142:143]
	v_add_f64 v[8:9], v[8:9], v[148:149]
	v_fma_f64 v[76:77], v[135:136], s[36:37], -v[152:153]
	v_fma_f64 v[142:143], v[135:136], s[36:37], v[152:153]
	v_fma_f64 v[144:145], v[135:136], s[34:35], v[156:157]
	v_fma_f64 v[146:147], v[135:136], s[34:35], -v[156:157]
	v_mul_f64 v[156:157], v[133:134], s[52:53]
	v_fma_f64 v[148:149], v[135:136], s[28:29], v[20:21]
	v_fma_f64 v[20:21], v[135:136], s[28:29], -v[20:21]
	v_fma_f64 v[150:151], v[135:136], s[20:21], -v[22:23]
	v_fma_f64 v[22:23], v[135:136], s[20:21], v[22:23]
	v_fma_f64 v[152:153], v[135:136], s[14:15], -v[131:132]
	v_fma_f64 v[131:132], v[135:136], s[14:15], v[131:132]
	v_mul_f64 v[135:136], v[133:134], s[38:39]
	v_mul_f64 v[133:134], v[133:134], s[44:45]
	v_add_f64 v[10:11], v[4:5], v[8:9]
	v_mul_f64 v[4:5], v[105:106], s[54:55]
	v_fma_f64 v[164:165], v[137:138], s[28:29], -v[156:157]
	v_fma_f64 v[156:157], v[137:138], s[28:29], v[156:157]
	v_add_f64 v[76:77], v[66:67], v[76:77]
	v_add_f64 v[144:145], v[66:67], v[144:145]
	;; [unrolled: 1-line block ×8, first 2 shown]
	v_fma_f64 v[160:161], v[137:138], s[36:37], -v[135:136]
	v_fma_f64 v[135:136], v[137:138], s[36:37], v[135:136]
	v_fma_f64 v[168:169], v[137:138], s[14:15], v[133:134]
	v_fma_f64 v[133:134], v[137:138], s[14:15], -v[133:134]
	v_add_f64 v[137:138], v[66:67], v[142:143]
	v_add_f64 v[156:157], v[64:65], v[156:157]
	v_fma_f64 v[8:9], v[111:112], s[18:19], -v[4:5]
	v_fma_f64 v[4:5], v[111:112], s[18:19], v[4:5]
	v_add_f64 v[66:67], v[66:67], v[131:132]
	v_add_f64 v[142:143], v[64:65], v[160:161]
	v_add_f64 v[135:136], v[64:65], v[135:136]
	v_add_f64 v[160:161], v[64:65], v[162:163]
	v_add_f64 v[162:163], v[64:65], v[164:165]
	v_add_f64 v[164:165], v[64:65], v[168:169]
	v_add_f64 v[64:65], v[64:65], v[133:134]
	v_mul_f64 v[133:134], v[107:108], s[22:23]
	v_add_f64 v[8:9], v[8:9], v[76:77]
	v_add_f64 v[4:5], v[4:5], v[137:138]
	v_mul_f64 v[76:77], v[102:103], s[54:55]
	v_fma_f64 v[137:138], v[127:128], s[20:21], -v[133:134]
	v_fma_f64 v[133:134], v[127:128], s[20:21], v[133:134]
	v_fma_f64 v[131:132], v[109:110], s[18:19], -v[76:77]
	v_fma_f64 v[76:77], v[109:110], s[18:19], v[76:77]
	v_add_f64 v[8:9], v[137:138], v[8:9]
	v_add_f64 v[4:5], v[133:134], v[4:5]
	v_mul_f64 v[133:134], v[90:91], s[22:23]
	v_add_f64 v[131:132], v[131:132], v[142:143]
	v_add_f64 v[76:77], v[76:77], v[135:136]
	v_fma_f64 v[137:138], v[125:126], s[20:21], -v[133:134]
	v_fma_f64 v[133:134], v[125:126], s[20:21], v[133:134]
	v_add_f64 v[131:132], v[137:138], v[131:132]
	v_mul_f64 v[137:138], v[115:116], s[52:53]
	v_add_f64 v[76:77], v[133:134], v[76:77]
	v_mul_f64 v[133:134], v[105:106], s[8:9]
	v_fma_f64 v[142:143], v[121:122], s[28:29], -v[137:138]
	v_fma_f64 v[137:138], v[121:122], s[28:29], v[137:138]
	v_add_f64 v[8:9], v[142:143], v[8:9]
	v_add_f64 v[4:5], v[137:138], v[4:5]
	v_mul_f64 v[137:138], v[113:114], s[52:53]
	v_fma_f64 v[142:143], v[117:118], s[28:29], -v[137:138]
	v_fma_f64 v[137:138], v[117:118], s[28:29], v[137:138]
	v_add_f64 v[131:132], v[142:143], v[131:132]
	v_mul_f64 v[142:143], v[100:101], s[8:9]
	v_add_f64 v[76:77], v[137:138], v[76:77]
	v_mul_f64 v[137:138], v[107:108], s[48:49]
	v_fma_f64 v[168:169], v[88:89], s[4:5], -v[142:143]
	v_fma_f64 v[142:143], v[88:89], s[4:5], v[142:143]
	v_add_f64 v[8:9], v[168:169], v[8:9]
	v_add_f64 v[4:5], v[142:143], v[4:5]
	v_mul_f64 v[142:143], v[129:130], s[8:9]
	v_fma_f64 v[168:169], v[123:124], s[4:5], -v[142:143]
	v_fma_f64 v[142:143], v[123:124], s[4:5], v[142:143]
	v_add_f64 v[131:132], v[168:169], v[131:132]
	v_mul_f64 v[168:169], v[98:99], s[42:43]
	v_add_f64 v[76:77], v[142:143], v[76:77]
	v_fma_f64 v[135:136], v[82:83], s[34:35], v[168:169]
	v_fma_f64 v[170:171], v[82:83], s[34:35], -v[168:169]
	v_add_f64 v[4:5], v[135:136], v[4:5]
	v_mul_f64 v[135:136], v[119:120], s[42:43]
	v_add_f64 v[8:9], v[170:171], v[8:9]
	s_mov_b32 s43, 0x3fc7851a
	s_mov_b32 s42, s8
	v_fma_f64 v[168:169], v[80:81], s[34:35], -v[135:136]
	v_fma_f64 v[135:136], v[80:81], s[34:35], v[135:136]
	v_add_f64 v[131:132], v[168:169], v[131:132]
	v_mul_f64 v[168:169], v[96:97], s[44:45]
	v_add_f64 v[76:77], v[135:136], v[76:77]
	v_mul_f64 v[135:136], v[102:103], s[26:27]
	v_fma_f64 v[170:171], v[74:75], s[14:15], -v[168:169]
	v_fma_f64 v[168:169], v[74:75], s[14:15], v[168:169]
	v_add_f64 v[8:9], v[170:171], v[8:9]
	v_fma_f64 v[170:171], v[111:112], s[4:5], v[133:134]
	v_fma_f64 v[133:134], v[111:112], s[4:5], -v[133:134]
	v_add_f64 v[168:169], v[168:169], v[4:5]
	v_mul_f64 v[4:5], v[78:79], s[44:45]
	v_add_f64 v[144:145], v[170:171], v[144:145]
	v_add_f64 v[133:134], v[133:134], v[146:147]
	v_fma_f64 v[146:147], v[127:128], s[36:37], v[137:138]
	v_fma_f64 v[137:138], v[127:128], s[36:37], -v[137:138]
	v_fma_f64 v[170:171], v[72:73], s[14:15], -v[4:5]
	v_fma_f64 v[4:5], v[72:73], s[14:15], v[4:5]
	v_add_f64 v[144:145], v[146:147], v[144:145]
	v_add_f64 v[133:134], v[137:138], v[133:134]
	v_mul_f64 v[137:138], v[115:116], s[10:11]
	v_add_f64 v[131:132], v[170:171], v[131:132]
	v_mul_f64 v[170:171], v[102:103], s[8:9]
	v_mul_f64 v[146:147], v[90:91], s[48:49]
	v_fma_f64 v[142:143], v[121:122], s[14:15], v[137:138]
	v_fma_f64 v[137:138], v[121:122], s[14:15], -v[137:138]
	v_fma_f64 v[172:173], v[109:110], s[4:5], -v[170:171]
	v_add_f64 v[142:143], v[142:143], v[144:145]
	v_fma_f64 v[144:145], v[109:110], s[4:5], v[170:171]
	v_add_f64 v[160:161], v[172:173], v[160:161]
	v_fma_f64 v[172:173], v[125:126], s[36:37], -v[146:147]
	v_fma_f64 v[146:147], v[125:126], s[36:37], v[146:147]
	v_add_f64 v[133:134], v[137:138], v[133:134]
	v_mul_f64 v[137:138], v[100:101], s[52:53]
	v_add_f64 v[144:145], v[144:145], v[154:155]
	v_mul_f64 v[154:155], v[105:106], s[26:27]
	v_add_f64 v[160:161], v[172:173], v[160:161]
	v_add_f64 v[144:145], v[146:147], v[144:145]
	v_fma_f64 v[170:171], v[111:112], s[24:25], v[154:155]
	v_fma_f64 v[154:155], v[111:112], s[24:25], -v[154:155]
	v_mul_f64 v[146:147], v[107:108], s[42:43]
	v_add_f64 v[148:149], v[170:171], v[148:149]
	v_mul_f64 v[170:171], v[113:114], s[10:11]
	v_add_f64 v[20:21], v[154:155], v[20:21]
	v_fma_f64 v[154:155], v[127:128], s[4:5], v[146:147]
	v_fma_f64 v[146:147], v[127:128], s[4:5], -v[146:147]
	v_fma_f64 v[172:173], v[117:118], s[14:15], -v[170:171]
	v_add_f64 v[148:149], v[154:155], v[148:149]
	v_mul_f64 v[154:155], v[129:130], s[52:53]
	v_add_f64 v[20:21], v[146:147], v[20:21]
	v_fma_f64 v[146:147], v[117:118], s[14:15], v[170:171]
	v_add_f64 v[160:161], v[172:173], v[160:161]
	v_fma_f64 v[172:173], v[109:110], s[24:25], -v[135:136]
	v_fma_f64 v[135:136], v[109:110], s[24:25], v[135:136]
	v_add_f64 v[144:145], v[146:147], v[144:145]
	v_mul_f64 v[146:147], v[115:116], s[48:49]
	v_add_f64 v[162:163], v[172:173], v[162:163]
	v_fma_f64 v[172:173], v[88:89], s[28:29], v[137:138]
	v_fma_f64 v[137:138], v[88:89], s[28:29], -v[137:138]
	v_add_f64 v[135:136], v[135:136], v[156:157]
	v_mul_f64 v[156:157], v[113:114], s[48:49]
	v_fma_f64 v[170:171], v[121:122], s[36:37], v[146:147]
	v_add_f64 v[142:143], v[172:173], v[142:143]
	v_fma_f64 v[172:173], v[123:124], s[28:29], -v[154:155]
	v_add_f64 v[133:134], v[137:138], v[133:134]
	v_mul_f64 v[137:138], v[98:99], s[16:17]
	v_add_f64 v[148:149], v[170:171], v[148:149]
	v_mul_f64 v[170:171], v[119:120], s[16:17]
	;; [unrolled: 2-line block ×3, first 2 shown]
	v_fma_f64 v[174:175], v[125:126], s[4:5], -v[172:173]
	v_add_f64 v[162:163], v[174:175], v[162:163]
	v_fma_f64 v[174:175], v[82:83], s[18:19], v[137:138]
	v_fma_f64 v[137:138], v[82:83], s[18:19], -v[137:138]
	v_add_f64 v[142:143], v[174:175], v[142:143]
	v_add_f64 v[133:134], v[137:138], v[133:134]
	;; [unrolled: 1-line block ×3, first 2 shown]
	v_mul_f64 v[4:5], v[96:97], s[46:47]
	v_fma_f64 v[174:175], v[80:81], s[18:19], -v[170:171]
	v_fma_f64 v[76:77], v[74:75], s[24:25], v[4:5]
	v_fma_f64 v[4:5], v[74:75], s[24:25], -v[4:5]
	v_add_f64 v[160:161], v[174:175], v[160:161]
	v_fma_f64 v[174:175], v[117:118], s[36:37], -v[156:157]
	v_add_f64 v[142:143], v[76:77], v[142:143]
	;; [unrolled: 2-line block ×3, first 2 shown]
	v_add_f64 v[162:163], v[174:175], v[162:163]
	v_add_f64 v[20:21], v[76:77], v[20:21]
	v_fma_f64 v[76:77], v[123:124], s[28:29], v[154:155]
	v_add_f64 v[76:77], v[76:77], v[144:145]
	v_mul_f64 v[144:145], v[100:101], s[22:23]
	v_fma_f64 v[146:147], v[88:89], s[20:21], v[144:145]
	v_fma_f64 v[4:5], v[88:89], s[20:21], -v[144:145]
	v_add_f64 v[146:147], v[146:147], v[148:149]
	v_mul_f64 v[148:149], v[78:79], s[46:47]
	v_add_f64 v[4:5], v[4:5], v[20:21]
	v_fma_f64 v[20:21], v[80:81], s[18:19], v[170:171]
	v_fma_f64 v[154:155], v[72:73], s[24:25], -v[148:149]
	v_add_f64 v[20:21], v[20:21], v[76:77]
	v_mul_f64 v[76:77], v[98:99], s[44:45]
	v_add_f64 v[154:155], v[154:155], v[160:161]
	v_fma_f64 v[160:161], v[125:126], s[4:5], v[172:173]
	v_fma_f64 v[144:145], v[82:83], s[14:15], v[76:77]
	v_fma_f64 v[76:77], v[82:83], s[14:15], -v[76:77]
	v_add_f64 v[135:136], v[160:161], v[135:136]
	v_mul_f64 v[160:161], v[129:130], s[22:23]
	v_add_f64 v[144:145], v[144:145], v[146:147]
	v_fma_f64 v[146:147], v[117:118], s[36:37], v[156:157]
	v_add_f64 v[4:5], v[76:77], v[4:5]
	v_fma_f64 v[76:77], v[123:124], s[20:21], v[160:161]
	v_fma_f64 v[172:173], v[123:124], s[20:21], -v[160:161]
	v_add_f64 v[135:136], v[146:147], v[135:136]
	v_mul_f64 v[146:147], v[119:120], s[44:45]
	v_add_f64 v[162:163], v[172:173], v[162:163]
	v_add_f64 v[76:77], v[76:77], v[135:136]
	v_mul_f64 v[135:136], v[105:106], s[40:41]
	v_mul_f64 v[105:106], v[105:106], s[50:51]
	v_fma_f64 v[156:157], v[80:81], s[14:15], -v[146:147]
	v_fma_f64 v[160:161], v[111:112], s[34:35], -v[135:136]
	v_fma_f64 v[135:136], v[111:112], s[34:35], v[135:136]
	v_add_f64 v[156:157], v[156:157], v[162:163]
	v_add_f64 v[150:151], v[160:161], v[150:151]
	v_fma_f64 v[160:161], v[111:112], s[20:21], -v[105:106]
	v_fma_f64 v[105:106], v[111:112], s[20:21], v[105:106]
	v_mul_f64 v[111:112], v[102:103], s[40:41]
	v_add_f64 v[22:23], v[135:136], v[22:23]
	v_mul_f64 v[135:136], v[107:108], s[26:27]
	v_mul_f64 v[107:108], v[107:108], s[52:53]
	;; [unrolled: 1-line block ×3, first 2 shown]
	v_add_f64 v[66:67], v[105:106], v[66:67]
	v_fma_f64 v[162:163], v[109:110], s[34:35], v[111:112]
	v_fma_f64 v[111:112], v[109:110], s[34:35], -v[111:112]
	v_mul_f64 v[105:106], v[90:91], s[26:27]
	v_mul_f64 v[90:91], v[90:91], s[52:53]
	v_fma_f64 v[170:171], v[109:110], s[20:21], v[102:103]
	v_fma_f64 v[102:103], v[109:110], s[20:21], -v[102:103]
	v_add_f64 v[109:110], v[160:161], v[152:153]
	v_add_f64 v[160:161], v[162:163], v[166:167]
	;; [unrolled: 1-line block ×3, first 2 shown]
	v_fma_f64 v[158:159], v[127:128], s[24:25], -v[135:136]
	v_fma_f64 v[135:136], v[127:128], s[24:25], v[135:136]
	v_fma_f64 v[162:163], v[125:126], s[28:29], v[90:91]
	v_fma_f64 v[90:91], v[125:126], s[28:29], -v[90:91]
	v_add_f64 v[64:65], v[102:103], v[64:65]
	v_add_f64 v[152:153], v[170:171], v[164:165]
	;; [unrolled: 1-line block ×3, first 2 shown]
	v_fma_f64 v[158:159], v[127:128], s[28:29], -v[107:108]
	v_fma_f64 v[107:108], v[127:128], s[28:29], v[107:108]
	v_fma_f64 v[127:128], v[125:126], s[24:25], v[105:106]
	v_fma_f64 v[105:106], v[125:126], s[24:25], -v[105:106]
	v_add_f64 v[22:23], v[135:136], v[22:23]
	v_add_f64 v[64:65], v[90:91], v[64:65]
	;; [unrolled: 1-line block ×4, first 2 shown]
	v_mul_f64 v[107:108], v[113:114], s[8:9]
	v_add_f64 v[105:106], v[105:106], v[111:112]
	v_mul_f64 v[111:112], v[115:116], s[8:9]
	v_mul_f64 v[115:116], v[115:116], s[40:41]
	v_add_f64 v[125:126], v[127:128], v[160:161]
	v_mul_f64 v[113:114], v[113:114], s[40:41]
	v_add_f64 v[109:110], v[162:163], v[152:153]
	v_fma_f64 v[127:128], v[121:122], s[4:5], -v[111:112]
	v_fma_f64 v[135:136], v[121:122], s[34:35], -v[115:116]
	v_fma_f64 v[111:112], v[121:122], s[4:5], v[111:112]
	v_fma_f64 v[115:116], v[121:122], s[34:35], v[115:116]
	v_fma_f64 v[121:122], v[117:118], s[4:5], v[107:108]
	v_fma_f64 v[107:108], v[117:118], s[4:5], -v[107:108]
	v_add_f64 v[127:128], v[127:128], v[150:151]
	v_add_f64 v[90:91], v[135:136], v[102:103]
	v_mul_f64 v[102:103], v[100:101], s[54:55]
	v_fma_f64 v[150:151], v[117:118], s[34:35], v[113:114]
	v_fma_f64 v[113:114], v[117:118], s[34:35], -v[113:114]
	v_mul_f64 v[100:101], v[100:101], s[38:39]
	v_add_f64 v[121:122], v[121:122], v[125:126]
	v_mul_f64 v[125:126], v[129:130], s[38:39]
	v_mul_f64 v[129:130], v[129:130], s[54:55]
	v_add_f64 v[22:23], v[111:112], v[22:23]
	v_mul_f64 v[111:112], v[98:99], s[48:49]
	v_add_f64 v[105:106], v[107:108], v[105:106]
	v_add_f64 v[66:67], v[115:116], v[66:67]
	v_mul_f64 v[98:99], v[98:99], s[26:27]
	v_fma_f64 v[117:118], v[88:89], s[18:19], -v[102:103]
	v_add_f64 v[109:110], v[150:151], v[109:110]
	v_fma_f64 v[102:103], v[88:89], s[18:19], v[102:103]
	v_fma_f64 v[107:108], v[88:89], s[36:37], -v[100:101]
	v_fma_f64 v[88:89], v[88:89], s[36:37], v[100:101]
	v_fma_f64 v[100:101], v[123:124], s[36:37], v[125:126]
	;; [unrolled: 1-line block ×3, first 2 shown]
	v_add_f64 v[64:65], v[113:114], v[64:65]
	v_mul_f64 v[113:114], v[96:97], s[40:41]
	v_add_f64 v[117:118], v[117:118], v[127:128]
	v_fma_f64 v[127:128], v[123:124], s[18:19], -v[129:130]
	v_fma_f64 v[123:124], v[123:124], s[36:37], -v[125:126]
	;; [unrolled: 1-line block ×3, first 2 shown]
	v_mul_f64 v[129:130], v[119:120], s[26:27]
	v_mul_f64 v[119:120], v[119:120], s[48:49]
	v_add_f64 v[90:91], v[107:108], v[90:91]
	v_add_f64 v[100:101], v[100:101], v[109:110]
	;; [unrolled: 1-line block ×4, first 2 shown]
	v_fma_f64 v[111:112], v[82:83], s[36:37], v[111:112]
	v_add_f64 v[66:67], v[88:89], v[66:67]
	v_mul_f64 v[88:89], v[78:79], s[16:17]
	v_mul_f64 v[107:108], v[96:97], s[30:31]
	;; [unrolled: 1-line block ×3, first 2 shown]
	v_add_f64 v[102:103], v[127:128], v[105:106]
	v_fma_f64 v[105:106], v[82:83], s[24:25], -v[98:99]
	v_add_f64 v[115:116], v[125:126], v[117:118]
	v_fma_f64 v[125:126], v[80:81], s[14:15], v[146:147]
	v_fma_f64 v[121:122], v[80:81], s[36:37], v[119:120]
	;; [unrolled: 1-line block ×3, first 2 shown]
	v_fma_f64 v[98:99], v[80:81], s[36:37], -v[119:120]
	v_mul_f64 v[119:120], v[78:79], s[30:31]
	v_mul_f64 v[78:79], v[78:79], s[40:41]
	v_fma_f64 v[127:128], v[74:75], s[34:35], -v[113:114]
	v_add_f64 v[64:65], v[123:124], v[64:65]
	v_add_f64 v[22:23], v[111:112], v[22:23]
	v_fma_f64 v[135:136], v[74:75], s[28:29], -v[107:108]
	v_fma_f64 v[107:108], v[74:75], s[28:29], v[107:108]
	v_fma_f64 v[117:118], v[80:81], s[24:25], v[129:130]
	v_fma_f64 v[80:81], v[80:81], s[24:25], -v[129:130]
	v_fma_f64 v[111:112], v[72:73], s[18:19], v[88:89]
	v_fma_f64 v[113:114], v[74:75], s[34:35], v[113:114]
	v_mul_f64 v[146:147], v[86:87], s[10:11]
	v_mul_f64 v[129:130], v[86:87], s[22:23]
	v_add_f64 v[90:91], v[105:106], v[90:91]
	v_add_f64 v[76:77], v[125:126], v[76:77]
	;; [unrolled: 1-line block ×5, first 2 shown]
	v_fma_f64 v[102:103], v[72:73], s[28:29], v[119:120]
	v_fma_f64 v[123:124], v[72:73], s[34:35], v[78:79]
	v_mul_f64 v[82:83], v[94:95], s[16:17]
	v_add_f64 v[121:122], v[127:128], v[4:5]
	v_mul_f64 v[109:110], v[94:95], s[26:27]
	v_add_f64 v[115:116], v[135:136], v[115:116]
	v_add_f64 v[107:108], v[107:108], v[22:23]
	;; [unrolled: 1-line block ×3, first 2 shown]
	v_fma_f64 v[117:118], v[74:75], s[18:19], -v[96:97]
	v_fma_f64 v[125:126], v[72:73], s[24:25], v[148:149]
	v_fma_f64 v[74:75], v[74:75], s[18:19], v[96:97]
	v_mul_f64 v[96:97], v[94:95], s[22:23]
	v_mul_f64 v[127:128], v[94:95], s[10:11]
	;; [unrolled: 1-line block ×6, first 2 shown]
	v_fma_f64 v[78:79], v[72:73], s[34:35], -v[78:79]
	v_fma_f64 v[119:120], v[72:73], s[28:29], -v[119:120]
	;; [unrolled: 1-line block ×3, first 2 shown]
	v_add_f64 v[64:65], v[80:81], v[64:65]
	v_fma_f64 v[150:151], v[84:85], s[14:15], v[146:147]
	v_add_f64 v[102:103], v[102:103], v[105:106]
	v_add_f64 v[105:106], v[123:124], v[76:77]
	v_fma_f64 v[76:77], v[92:93], s[18:19], -v[82:83]
	v_add_f64 v[113:114], v[113:114], v[144:145]
	v_fma_f64 v[88:89], v[92:93], s[24:25], -v[109:110]
	v_fma_f64 v[146:147], v[84:85], s[14:15], -v[146:147]
	v_add_f64 v[100:101], v[111:112], v[100:101]
	v_add_f64 v[80:81], v[117:118], v[90:91]
	;; [unrolled: 1-line block ×3, first 2 shown]
	v_fma_f64 v[90:91], v[92:93], s[24:25], v[109:110]
	v_fma_f64 v[20:21], v[92:93], s[20:21], -v[96:97]
	v_fma_f64 v[123:124], v[92:93], s[14:15], -v[127:128]
	;; [unrolled: 1-line block ×3, first 2 shown]
	v_fma_f64 v[148:149], v[84:85], s[4:5], v[135:136]
	v_fma_f64 v[111:112], v[84:85], s[24:25], v[4:5]
	;; [unrolled: 1-line block ×3, first 2 shown]
	v_add_f64 v[144:145], v[78:79], v[156:157]
	v_fma_f64 v[156:157], v[84:85], s[20:21], v[129:130]
	v_fma_f64 v[109:110], v[84:85], s[24:25], -v[4:5]
	v_fma_f64 v[96:97], v[92:93], s[20:21], v[96:97]
	v_fma_f64 v[129:130], v[84:85], s[20:21], -v[129:130]
	v_add_f64 v[98:99], v[119:120], v[98:99]
	v_fma_f64 v[119:120], v[92:93], s[18:19], v[82:83]
	v_add_f64 v[22:23], v[76:77], v[121:122]
	v_add_f64 v[76:77], v[0:1], v[10:11]
	buffer_load_dword v1, off, s[56:59], 0 offset:4 ; 4-byte Folded Reload
	v_fma_f64 v[127:128], v[92:93], s[14:15], v[127:128]
	v_fma_f64 v[158:159], v[92:93], s[4:5], v[94:95]
	v_fma_f64 v[92:93], v[84:85], s[18:19], -v[86:87]
	v_add_f64 v[160:161], v[74:75], v[66:67]
	v_fma_f64 v[135:136], v[84:85], s[4:5], -v[135:136]
	v_add_f64 v[162:163], v[72:73], v[64:65]
	v_add_f64 v[78:79], v[2:3], v[6:7]
	;; [unrolled: 1-line block ×13, first 2 shown]
	v_and_b32_e32 v0, 0xffff, v243
	v_add_f64 v[86:87], v[96:97], v[142:143]
	v_add_f64 v[84:85], v[129:130], v[154:155]
	;; [unrolled: 1-line block ×8, first 2 shown]
	s_waitcnt vmcnt(0)
	v_lshl_add_u32 v0, v0, 4, v1
	ds_write_b128 v0, v[76:79]
	ds_write_b128 v0, v[72:75] offset:16
	ds_write_b128 v0, v[64:67] offset:32
	;; [unrolled: 1-line block ×16, first 2 shown]
.LBB0_13:
	s_or_b32 exec_lo, exec_lo, s33
	s_waitcnt lgkmcnt(0)
	s_barrier
	buffer_gl0_inv
	ds_read_b128 v[0:3], v140 offset:272
	ds_read_b128 v[4:7], v140 offset:544
	ds_read_b128 v[8:11], v140 offset:1088
	ds_read_b128 v[12:15], v140 offset:1632
	ds_read_b128 v[16:19], v140 offset:1360
	ds_read_b128 v[20:23], v140 offset:816
	ds_read_b128 v[24:27], v140 offset:1904
	ds_read_b128 v[28:31], v140
	s_mov_b32 s4, 0x667f3bcd
	s_mov_b32 s5, 0xbfe6a09e
	;; [unrolled: 1-line block ×4, first 2 shown]
	s_waitcnt lgkmcnt(7)
	v_mul_f64 v[32:33], v[46:47], v[2:3]
	v_mul_f64 v[34:35], v[46:47], v[0:1]
	s_waitcnt lgkmcnt(6)
	v_mul_f64 v[46:47], v[42:43], v[6:7]
	v_mul_f64 v[42:43], v[42:43], v[4:5]
	;; [unrolled: 3-line block ×7, first 2 shown]
	v_fma_f64 v[0:1], v[44:45], v[0:1], v[32:33]
	v_fma_f64 v[2:3], v[44:45], v[2:3], -v[34:35]
	v_fma_f64 v[4:5], v[40:41], v[4:5], v[46:47]
	v_fma_f64 v[6:7], v[40:41], v[6:7], -v[42:43]
	;; [unrolled: 2-line block ×7, first 2 shown]
	s_waitcnt lgkmcnt(0)
	v_add_f64 v[8:9], v[28:29], -v[8:9]
	v_add_f64 v[10:11], v[30:31], -v[10:11]
	;; [unrolled: 1-line block ×8, first 2 shown]
	v_fma_f64 v[28:29], v[28:29], 2.0, -v[8:9]
	v_fma_f64 v[30:31], v[30:31], 2.0, -v[10:11]
	;; [unrolled: 1-line block ×6, first 2 shown]
	v_add_f64 v[32:33], v[8:9], v[14:15]
	v_add_f64 v[34:35], v[10:11], -v[12:13]
	v_fma_f64 v[12:13], v[20:21], 2.0, -v[24:25]
	v_fma_f64 v[14:15], v[22:23], 2.0, -v[26:27]
	v_add_f64 v[20:21], v[16:17], v[26:27]
	v_add_f64 v[22:23], v[18:19], -v[24:25]
	v_add_f64 v[24:25], v[28:29], -v[4:5]
	;; [unrolled: 1-line block ×3, first 2 shown]
	v_fma_f64 v[36:37], v[8:9], 2.0, -v[32:33]
	v_fma_f64 v[38:39], v[10:11], 2.0, -v[34:35]
	v_add_f64 v[4:5], v[0:1], -v[12:13]
	v_add_f64 v[6:7], v[2:3], -v[14:15]
	v_fma_f64 v[14:15], v[16:17], 2.0, -v[20:21]
	v_fma_f64 v[12:13], v[18:19], 2.0, -v[22:23]
	v_fma_f64 v[8:9], v[20:21], s[8:9], v[32:33]
	v_fma_f64 v[10:11], v[22:23], s[8:9], v[34:35]
	v_fma_f64 v[28:29], v[28:29], 2.0, -v[24:25]
	v_fma_f64 v[30:31], v[30:31], 2.0, -v[26:27]
	;; [unrolled: 1-line block ×4, first 2 shown]
	v_fma_f64 v[40:41], v[14:15], s[4:5], v[36:37]
	v_fma_f64 v[42:43], v[12:13], s[4:5], v[38:39]
	v_add_f64 v[0:1], v[24:25], v[6:7]
	v_add_f64 v[2:3], v[26:27], -v[4:5]
	v_fma_f64 v[4:5], v[22:23], s[8:9], v[8:9]
	v_fma_f64 v[6:7], v[20:21], s[4:5], v[10:11]
	v_add_f64 v[8:9], v[28:29], -v[16:17]
	v_add_f64 v[10:11], v[30:31], -v[18:19]
	v_fma_f64 v[12:13], v[12:13], s[8:9], v[40:41]
	v_fma_f64 v[14:15], v[14:15], s[4:5], v[42:43]
	v_fma_f64 v[16:17], v[24:25], 2.0, -v[0:1]
	v_fma_f64 v[18:19], v[26:27], 2.0, -v[2:3]
	;; [unrolled: 1-line block ×8, first 2 shown]
	ds_write_b128 v139, v[0:3] offset:1632
	ds_write_b128 v139, v[4:7] offset:1904
	;; [unrolled: 1-line block ×6, first 2 shown]
	ds_write_b128 v139, v[24:27]
	ds_write_b128 v139, v[28:31] offset:272
	s_waitcnt lgkmcnt(0)
	s_barrier
	buffer_gl0_inv
	s_and_b32 exec_lo, exec_lo, vcc_lo
	s_cbranch_execz .LBB0_15
; %bb.14:
	buffer_load_dword v4, off, s[56:59], 0  ; 4-byte Folded Reload
	global_load_dwordx4 v[0:3], v141, s[6:7]
	v_mad_u64_u32 v[10:11], null, s2, v104, 0
	s_waitcnt vmcnt(1)
	ds_read_b128 v[4:7], v4
	s_waitcnt vmcnt(0) lgkmcnt(0)
	v_mul_f64 v[8:9], v[6:7], v[2:3]
	v_mul_f64 v[2:3], v[4:5], v[2:3]
	v_fma_f64 v[4:5], v[4:5], v[0:1], v[8:9]
	v_fma_f64 v[0:1], v[0:1], v[6:7], -v[2:3]
	v_mad_u64_u32 v[6:7], null, s0, v255, 0
	v_mov_b32_e32 v2, v11
	v_mov_b32_e32 v3, v7
	v_mad_u64_u32 v[7:8], null, s3, v104, v[2:3]
	s_mov_b32 s2, 0x1e1e1e1e
	s_mov_b32 s3, 0x3f7e1e1e
	v_mad_u64_u32 v[8:9], null, s1, v255, v[3:4]
	v_mov_b32_e32 v11, v7
	v_mul_f64 v[2:3], v[4:5], s[2:3]
	v_mul_f64 v[4:5], v[0:1], s[2:3]
	v_lshlrev_b64 v[0:1], 4, v[10:11]
	v_mov_b32_e32 v7, v8
	v_add_co_u32 v0, vcc_lo, s12, v0
	v_lshlrev_b64 v[6:7], 4, v[6:7]
	v_add_co_ci_u32_e32 v1, vcc_lo, s13, v1, vcc_lo
	v_add_co_u32 v6, vcc_lo, v0, v6
	v_add_co_ci_u32_e32 v7, vcc_lo, v1, v7, vcc_lo
	global_store_dwordx4 v[6:7], v[2:5], off
	global_load_dwordx4 v[2:5], v141, s[6:7] offset:128
	ds_read_b128 v[6:9], v139 offset:128
	ds_read_b128 v[10:13], v139 offset:256
	s_waitcnt vmcnt(0) lgkmcnt(1)
	v_mul_f64 v[14:15], v[8:9], v[4:5]
	v_mul_f64 v[4:5], v[6:7], v[4:5]
	v_fma_f64 v[6:7], v[6:7], v[2:3], v[14:15]
	v_fma_f64 v[4:5], v[2:3], v[8:9], -v[4:5]
	v_or_b32_e32 v3, 8, v255
	v_mad_u64_u32 v[8:9], null, s0, v3, 0
	v_mov_b32_e32 v2, v9
	v_mad_u64_u32 v[14:15], null, s1, v3, v[2:3]
	v_mul_f64 v[2:3], v[6:7], s[2:3]
	v_mul_f64 v[4:5], v[4:5], s[2:3]
	v_mov_b32_e32 v9, v14
	v_lshlrev_b64 v[6:7], 4, v[8:9]
	v_add_co_u32 v6, vcc_lo, v0, v6
	v_add_co_ci_u32_e32 v7, vcc_lo, v1, v7, vcc_lo
	global_store_dwordx4 v[6:7], v[2:5], off
	global_load_dwordx4 v[2:5], v141, s[6:7] offset:256
	s_waitcnt vmcnt(0) lgkmcnt(0)
	v_mul_f64 v[6:7], v[12:13], v[4:5]
	v_mul_f64 v[4:5], v[10:11], v[4:5]
	v_fma_f64 v[6:7], v[10:11], v[2:3], v[6:7]
	v_fma_f64 v[4:5], v[2:3], v[12:13], -v[4:5]
	v_or_b32_e32 v3, 16, v255
	v_mad_u64_u32 v[8:9], null, s0, v3, 0
	v_mov_b32_e32 v2, v9
	v_mad_u64_u32 v[9:10], null, s1, v3, v[2:3]
	v_mul_f64 v[2:3], v[6:7], s[2:3]
	v_mul_f64 v[4:5], v[4:5], s[2:3]
	v_lshlrev_b64 v[6:7], 4, v[8:9]
	v_add_co_u32 v6, vcc_lo, v0, v6
	v_add_co_ci_u32_e32 v7, vcc_lo, v1, v7, vcc_lo
	global_store_dwordx4 v[6:7], v[2:5], off
	global_load_dwordx4 v[2:5], v141, s[6:7] offset:384
	ds_read_b128 v[6:9], v139 offset:384
	ds_read_b128 v[10:13], v139 offset:512
	s_waitcnt vmcnt(0) lgkmcnt(1)
	v_mul_f64 v[14:15], v[8:9], v[4:5]
	v_mul_f64 v[4:5], v[6:7], v[4:5]
	v_fma_f64 v[6:7], v[6:7], v[2:3], v[14:15]
	v_fma_f64 v[4:5], v[2:3], v[8:9], -v[4:5]
	v_or_b32_e32 v3, 24, v255
	v_mad_u64_u32 v[8:9], null, s0, v3, 0
	v_mov_b32_e32 v2, v9
	v_mad_u64_u32 v[14:15], null, s1, v3, v[2:3]
	v_mul_f64 v[2:3], v[6:7], s[2:3]
	v_mul_f64 v[4:5], v[4:5], s[2:3]
	v_mov_b32_e32 v9, v14
	v_lshlrev_b64 v[6:7], 4, v[8:9]
	v_add_co_u32 v6, vcc_lo, v0, v6
	v_add_co_ci_u32_e32 v7, vcc_lo, v1, v7, vcc_lo
	global_store_dwordx4 v[6:7], v[2:5], off
	global_load_dwordx4 v[2:5], v141, s[6:7] offset:512
	s_waitcnt vmcnt(0) lgkmcnt(0)
	v_mul_f64 v[6:7], v[12:13], v[4:5]
	v_mul_f64 v[4:5], v[10:11], v[4:5]
	v_fma_f64 v[6:7], v[10:11], v[2:3], v[6:7]
	v_fma_f64 v[4:5], v[2:3], v[12:13], -v[4:5]
	v_or_b32_e32 v3, 32, v255
	v_mad_u64_u32 v[8:9], null, s0, v3, 0
	v_mov_b32_e32 v2, v9
	v_mad_u64_u32 v[9:10], null, s1, v3, v[2:3]
	v_mul_f64 v[2:3], v[6:7], s[2:3]
	v_mul_f64 v[4:5], v[4:5], s[2:3]
	v_lshlrev_b64 v[6:7], 4, v[8:9]
	;; [unrolled: 35-line block ×6, first 2 shown]
	v_add_co_u32 v6, vcc_lo, v0, v6
	v_add_co_ci_u32_e32 v7, vcc_lo, v1, v7, vcc_lo
	global_store_dwordx4 v[6:7], v[2:5], off
	global_load_dwordx4 v[2:5], v141, s[6:7] offset:1664
	ds_read_b128 v[6:9], v139 offset:1664
	ds_read_b128 v[10:13], v139 offset:1792
	s_waitcnt vmcnt(0) lgkmcnt(1)
	v_mul_f64 v[14:15], v[8:9], v[4:5]
	v_mul_f64 v[4:5], v[6:7], v[4:5]
	v_fma_f64 v[6:7], v[6:7], v[2:3], v[14:15]
	v_fma_f64 v[4:5], v[2:3], v[8:9], -v[4:5]
	v_or_b32_e32 v3, 0x68, v255
	v_mad_u64_u32 v[8:9], null, s0, v3, 0
	v_mov_b32_e32 v2, v9
	v_mad_u64_u32 v[14:15], null, s1, v3, v[2:3]
	v_mul_f64 v[2:3], v[6:7], s[2:3]
	v_mul_f64 v[4:5], v[4:5], s[2:3]
	v_mov_b32_e32 v9, v14
	v_or_b32_e32 v14, 0x70, v255
	v_lshlrev_b64 v[6:7], 4, v[8:9]
	v_mad_u64_u32 v[8:9], null, s0, v14, 0
	v_add_co_u32 v6, vcc_lo, v0, v6
	v_add_co_ci_u32_e32 v7, vcc_lo, v1, v7, vcc_lo
	global_store_dwordx4 v[6:7], v[2:5], off
	global_load_dwordx4 v[2:5], v141, s[6:7] offset:1792
	s_waitcnt vmcnt(0) lgkmcnt(0)
	v_mul_f64 v[6:7], v[12:13], v[4:5]
	v_mul_f64 v[4:5], v[10:11], v[4:5]
	v_fma_f64 v[6:7], v[10:11], v[2:3], v[6:7]
	v_fma_f64 v[4:5], v[2:3], v[12:13], -v[4:5]
	v_mov_b32_e32 v2, v9
	v_mad_u64_u32 v[9:10], null, s1, v14, v[2:3]
	v_mul_f64 v[2:3], v[6:7], s[2:3]
	v_mul_f64 v[4:5], v[4:5], s[2:3]
	v_lshlrev_b64 v[6:7], 4, v[8:9]
	v_add_co_u32 v6, vcc_lo, v0, v6
	v_add_co_ci_u32_e32 v7, vcc_lo, v1, v7, vcc_lo
	global_store_dwordx4 v[6:7], v[2:5], off
	global_load_dwordx4 v[2:5], v141, s[6:7] offset:1920
	ds_read_b128 v[6:9], v139 offset:1920
	ds_read_b128 v[10:13], v139 offset:2048
	s_waitcnt vmcnt(0) lgkmcnt(1)
	v_mul_f64 v[14:15], v[8:9], v[4:5]
	v_mul_f64 v[4:5], v[6:7], v[4:5]
	v_fma_f64 v[6:7], v[6:7], v[2:3], v[14:15]
	v_fma_f64 v[4:5], v[2:3], v[8:9], -v[4:5]
	v_or_b32_e32 v3, 0x78, v255
	v_mad_u64_u32 v[8:9], null, s0, v3, 0
	v_mov_b32_e32 v2, v9
	v_mad_u64_u32 v[14:15], null, s1, v3, v[2:3]
	v_mul_f64 v[2:3], v[6:7], s[2:3]
	v_mul_f64 v[4:5], v[4:5], s[2:3]
	v_mov_b32_e32 v9, v14
	v_or_b32_e32 v14, 0x80, v255
	v_lshlrev_b64 v[6:7], 4, v[8:9]
	v_lshlrev_b32_e32 v8, 4, v14
	v_add_co_u32 v6, vcc_lo, v0, v6
	v_add_co_ci_u32_e32 v7, vcc_lo, v1, v7, vcc_lo
	global_store_dwordx4 v[6:7], v[2:5], off
	global_load_dwordx4 v[2:5], v8, s[6:7]
	v_mad_u64_u32 v[8:9], null, s0, v14, 0
	s_waitcnt vmcnt(0) lgkmcnt(0)
	v_mul_f64 v[6:7], v[12:13], v[4:5]
	v_mul_f64 v[4:5], v[10:11], v[4:5]
	v_fma_f64 v[6:7], v[10:11], v[2:3], v[6:7]
	v_fma_f64 v[4:5], v[2:3], v[12:13], -v[4:5]
	v_mov_b32_e32 v2, v9
	v_mad_u64_u32 v[9:10], null, s1, v14, v[2:3]
	v_mul_f64 v[2:3], v[6:7], s[2:3]
	v_mul_f64 v[4:5], v[4:5], s[2:3]
	v_lshlrev_b64 v[6:7], 4, v[8:9]
	v_add_co_u32 v0, vcc_lo, v0, v6
	v_add_co_ci_u32_e32 v1, vcc_lo, v1, v7, vcc_lo
	global_store_dwordx4 v[0:1], v[2:5], off
.LBB0_15:
	s_endpgm
	.section	.rodata,"a",@progbits
	.p2align	6, 0x0
	.amdhsa_kernel bluestein_single_fwd_len136_dim1_dp_op_CI_CI
		.amdhsa_group_segment_fixed_size 15232
		.amdhsa_private_segment_fixed_size 564
		.amdhsa_kernarg_size 104
		.amdhsa_user_sgpr_count 6
		.amdhsa_user_sgpr_private_segment_buffer 1
		.amdhsa_user_sgpr_dispatch_ptr 0
		.amdhsa_user_sgpr_queue_ptr 0
		.amdhsa_user_sgpr_kernarg_segment_ptr 1
		.amdhsa_user_sgpr_dispatch_id 0
		.amdhsa_user_sgpr_flat_scratch_init 0
		.amdhsa_user_sgpr_private_segment_size 0
		.amdhsa_wavefront_size32 1
		.amdhsa_uses_dynamic_stack 0
		.amdhsa_system_sgpr_private_segment_wavefront_offset 1
		.amdhsa_system_sgpr_workgroup_id_x 1
		.amdhsa_system_sgpr_workgroup_id_y 0
		.amdhsa_system_sgpr_workgroup_id_z 0
		.amdhsa_system_sgpr_workgroup_info 0
		.amdhsa_system_vgpr_workitem_id 0
		.amdhsa_next_free_vgpr 256
		.amdhsa_next_free_sgpr 60
		.amdhsa_reserve_vcc 1
		.amdhsa_reserve_flat_scratch 0
		.amdhsa_float_round_mode_32 0
		.amdhsa_float_round_mode_16_64 0
		.amdhsa_float_denorm_mode_32 3
		.amdhsa_float_denorm_mode_16_64 3
		.amdhsa_dx10_clamp 1
		.amdhsa_ieee_mode 1
		.amdhsa_fp16_overflow 0
		.amdhsa_workgroup_processor_mode 1
		.amdhsa_memory_ordered 1
		.amdhsa_forward_progress 0
		.amdhsa_shared_vgpr_count 0
		.amdhsa_exception_fp_ieee_invalid_op 0
		.amdhsa_exception_fp_denorm_src 0
		.amdhsa_exception_fp_ieee_div_zero 0
		.amdhsa_exception_fp_ieee_overflow 0
		.amdhsa_exception_fp_ieee_underflow 0
		.amdhsa_exception_fp_ieee_inexact 0
		.amdhsa_exception_int_div_zero 0
	.end_amdhsa_kernel
	.text
.Lfunc_end0:
	.size	bluestein_single_fwd_len136_dim1_dp_op_CI_CI, .Lfunc_end0-bluestein_single_fwd_len136_dim1_dp_op_CI_CI
                                        ; -- End function
	.section	.AMDGPU.csdata,"",@progbits
; Kernel info:
; codeLenInByte = 23468
; NumSgprs: 62
; NumVgprs: 256
; ScratchSize: 564
; MemoryBound: 0
; FloatMode: 240
; IeeeMode: 1
; LDSByteSize: 15232 bytes/workgroup (compile time only)
; SGPRBlocks: 7
; VGPRBlocks: 31
; NumSGPRsForWavesPerEU: 62
; NumVGPRsForWavesPerEU: 256
; Occupancy: 4
; WaveLimiterHint : 1
; COMPUTE_PGM_RSRC2:SCRATCH_EN: 1
; COMPUTE_PGM_RSRC2:USER_SGPR: 6
; COMPUTE_PGM_RSRC2:TRAP_HANDLER: 0
; COMPUTE_PGM_RSRC2:TGID_X_EN: 1
; COMPUTE_PGM_RSRC2:TGID_Y_EN: 0
; COMPUTE_PGM_RSRC2:TGID_Z_EN: 0
; COMPUTE_PGM_RSRC2:TIDIG_COMP_CNT: 0
	.text
	.p2alignl 6, 3214868480
	.fill 48, 4, 3214868480
	.type	__hip_cuid_375e92699954cd2c,@object ; @__hip_cuid_375e92699954cd2c
	.section	.bss,"aw",@nobits
	.globl	__hip_cuid_375e92699954cd2c
__hip_cuid_375e92699954cd2c:
	.byte	0                               ; 0x0
	.size	__hip_cuid_375e92699954cd2c, 1

	.ident	"AMD clang version 19.0.0git (https://github.com/RadeonOpenCompute/llvm-project roc-6.4.0 25133 c7fe45cf4b819c5991fe208aaa96edf142730f1d)"
	.section	".note.GNU-stack","",@progbits
	.addrsig
	.addrsig_sym __hip_cuid_375e92699954cd2c
	.amdgpu_metadata
---
amdhsa.kernels:
  - .args:
      - .actual_access:  read_only
        .address_space:  global
        .offset:         0
        .size:           8
        .value_kind:     global_buffer
      - .actual_access:  read_only
        .address_space:  global
        .offset:         8
        .size:           8
        .value_kind:     global_buffer
      - .actual_access:  read_only
        .address_space:  global
        .offset:         16
        .size:           8
        .value_kind:     global_buffer
      - .actual_access:  read_only
        .address_space:  global
        .offset:         24
        .size:           8
        .value_kind:     global_buffer
      - .actual_access:  read_only
        .address_space:  global
        .offset:         32
        .size:           8
        .value_kind:     global_buffer
      - .offset:         40
        .size:           8
        .value_kind:     by_value
      - .address_space:  global
        .offset:         48
        .size:           8
        .value_kind:     global_buffer
      - .address_space:  global
        .offset:         56
        .size:           8
        .value_kind:     global_buffer
      - .address_space:  global
        .offset:         64
        .size:           8
        .value_kind:     global_buffer
      - .address_space:  global
        .offset:         72
        .size:           8
        .value_kind:     global_buffer
      - .offset:         80
        .size:           4
        .value_kind:     by_value
      - .address_space:  global
        .offset:         88
        .size:           8
        .value_kind:     global_buffer
      - .address_space:  global
        .offset:         96
        .size:           8
        .value_kind:     global_buffer
    .group_segment_fixed_size: 15232
    .kernarg_segment_align: 8
    .kernarg_segment_size: 104
    .language:       OpenCL C
    .language_version:
      - 2
      - 0
    .max_flat_workgroup_size: 119
    .name:           bluestein_single_fwd_len136_dim1_dp_op_CI_CI
    .private_segment_fixed_size: 564
    .sgpr_count:     62
    .sgpr_spill_count: 0
    .symbol:         bluestein_single_fwd_len136_dim1_dp_op_CI_CI.kd
    .uniform_work_group_size: 1
    .uses_dynamic_stack: false
    .vgpr_count:     256
    .vgpr_spill_count: 140
    .wavefront_size: 32
    .workgroup_processor_mode: 1
amdhsa.target:   amdgcn-amd-amdhsa--gfx1030
amdhsa.version:
  - 1
  - 2
...

	.end_amdgpu_metadata
